;; amdgpu-corpus repo=ROCm/rocFFT kind=compiled arch=gfx1100 opt=O3
	.text
	.amdgcn_target "amdgcn-amd-amdhsa--gfx1100"
	.amdhsa_code_object_version 6
	.protected	fft_rtc_back_len1904_factors_17_2_2_7_4_wgs_119_tpt_119_halfLds_dp_ip_CI_unitstride_sbrr_C2R_dirReg ; -- Begin function fft_rtc_back_len1904_factors_17_2_2_7_4_wgs_119_tpt_119_halfLds_dp_ip_CI_unitstride_sbrr_C2R_dirReg
	.globl	fft_rtc_back_len1904_factors_17_2_2_7_4_wgs_119_tpt_119_halfLds_dp_ip_CI_unitstride_sbrr_C2R_dirReg
	.p2align	8
	.type	fft_rtc_back_len1904_factors_17_2_2_7_4_wgs_119_tpt_119_halfLds_dp_ip_CI_unitstride_sbrr_C2R_dirReg,@function
fft_rtc_back_len1904_factors_17_2_2_7_4_wgs_119_tpt_119_halfLds_dp_ip_CI_unitstride_sbrr_C2R_dirReg: ; @fft_rtc_back_len1904_factors_17_2_2_7_4_wgs_119_tpt_119_halfLds_dp_ip_CI_unitstride_sbrr_C2R_dirReg
; %bb.0:
	s_clause 0x2
	s_load_b128 s[4:7], s[0:1], 0x0
	s_load_b64 s[8:9], s[0:1], 0x50
	s_load_b64 s[10:11], s[0:1], 0x18
	v_mul_u32_u24_e32 v1, 0x227, v0
	v_mov_b32_e32 v3, 0
	v_mov_b32_e32 v4, 0
	s_delay_alu instid0(VALU_DEP_3) | instskip(SKIP_1) | instid1(VALU_DEP_1)
	v_lshrrev_b32_e32 v2, 16, v1
	v_mov_b32_e32 v1, 0
	v_dual_mov_b32 v6, v1 :: v_dual_add_nc_u32 v5, s15, v2
	s_waitcnt lgkmcnt(0)
	v_cmp_lt_u64_e64 s2, s[6:7], 2
	s_delay_alu instid0(VALU_DEP_1)
	s_and_b32 vcc_lo, exec_lo, s2
	s_cbranch_vccnz .LBB0_8
; %bb.1:
	s_load_b64 s[2:3], s[0:1], 0x10
	v_mov_b32_e32 v3, 0
	s_add_u32 s12, s10, 8
	v_mov_b32_e32 v4, 0
	s_addc_u32 s13, s11, 0
	s_mov_b64 s[16:17], 1
	s_waitcnt lgkmcnt(0)
	s_add_u32 s14, s2, 8
	s_addc_u32 s15, s3, 0
.LBB0_2:                                ; =>This Inner Loop Header: Depth=1
	s_load_b64 s[18:19], s[14:15], 0x0
                                        ; implicit-def: $vgpr7_vgpr8
	s_mov_b32 s2, exec_lo
	s_waitcnt lgkmcnt(0)
	v_or_b32_e32 v2, s19, v6
	s_delay_alu instid0(VALU_DEP_1)
	v_cmpx_ne_u64_e32 0, v[1:2]
	s_xor_b32 s3, exec_lo, s2
	s_cbranch_execz .LBB0_4
; %bb.3:                                ;   in Loop: Header=BB0_2 Depth=1
	v_cvt_f32_u32_e32 v2, s18
	v_cvt_f32_u32_e32 v7, s19
	s_sub_u32 s2, 0, s18
	s_subb_u32 s20, 0, s19
	s_delay_alu instid0(VALU_DEP_1) | instskip(NEXT) | instid1(VALU_DEP_1)
	v_fmac_f32_e32 v2, 0x4f800000, v7
	v_rcp_f32_e32 v2, v2
	s_waitcnt_depctr 0xfff
	v_mul_f32_e32 v2, 0x5f7ffffc, v2
	s_delay_alu instid0(VALU_DEP_1) | instskip(NEXT) | instid1(VALU_DEP_1)
	v_mul_f32_e32 v7, 0x2f800000, v2
	v_trunc_f32_e32 v7, v7
	s_delay_alu instid0(VALU_DEP_1) | instskip(SKIP_1) | instid1(VALU_DEP_2)
	v_fmac_f32_e32 v2, 0xcf800000, v7
	v_cvt_u32_f32_e32 v7, v7
	v_cvt_u32_f32_e32 v2, v2
	s_delay_alu instid0(VALU_DEP_2) | instskip(NEXT) | instid1(VALU_DEP_2)
	v_mul_lo_u32 v8, s2, v7
	v_mul_hi_u32 v9, s2, v2
	v_mul_lo_u32 v10, s20, v2
	s_delay_alu instid0(VALU_DEP_2) | instskip(SKIP_1) | instid1(VALU_DEP_2)
	v_add_nc_u32_e32 v8, v9, v8
	v_mul_lo_u32 v9, s2, v2
	v_add_nc_u32_e32 v8, v8, v10
	s_delay_alu instid0(VALU_DEP_2) | instskip(NEXT) | instid1(VALU_DEP_2)
	v_mul_hi_u32 v10, v2, v9
	v_mul_lo_u32 v11, v2, v8
	v_mul_hi_u32 v12, v2, v8
	v_mul_hi_u32 v13, v7, v9
	v_mul_lo_u32 v9, v7, v9
	v_mul_hi_u32 v14, v7, v8
	v_mul_lo_u32 v8, v7, v8
	v_add_co_u32 v10, vcc_lo, v10, v11
	v_add_co_ci_u32_e32 v11, vcc_lo, 0, v12, vcc_lo
	s_delay_alu instid0(VALU_DEP_2) | instskip(NEXT) | instid1(VALU_DEP_2)
	v_add_co_u32 v9, vcc_lo, v10, v9
	v_add_co_ci_u32_e32 v9, vcc_lo, v11, v13, vcc_lo
	v_add_co_ci_u32_e32 v10, vcc_lo, 0, v14, vcc_lo
	s_delay_alu instid0(VALU_DEP_2) | instskip(NEXT) | instid1(VALU_DEP_2)
	v_add_co_u32 v8, vcc_lo, v9, v8
	v_add_co_ci_u32_e32 v9, vcc_lo, 0, v10, vcc_lo
	s_delay_alu instid0(VALU_DEP_2) | instskip(NEXT) | instid1(VALU_DEP_2)
	v_add_co_u32 v2, vcc_lo, v2, v8
	v_add_co_ci_u32_e32 v7, vcc_lo, v7, v9, vcc_lo
	s_delay_alu instid0(VALU_DEP_2) | instskip(SKIP_1) | instid1(VALU_DEP_3)
	v_mul_hi_u32 v8, s2, v2
	v_mul_lo_u32 v10, s20, v2
	v_mul_lo_u32 v9, s2, v7
	s_delay_alu instid0(VALU_DEP_1) | instskip(SKIP_1) | instid1(VALU_DEP_2)
	v_add_nc_u32_e32 v8, v8, v9
	v_mul_lo_u32 v9, s2, v2
	v_add_nc_u32_e32 v8, v8, v10
	s_delay_alu instid0(VALU_DEP_2) | instskip(NEXT) | instid1(VALU_DEP_2)
	v_mul_hi_u32 v10, v2, v9
	v_mul_lo_u32 v11, v2, v8
	v_mul_hi_u32 v12, v2, v8
	v_mul_hi_u32 v13, v7, v9
	v_mul_lo_u32 v9, v7, v9
	v_mul_hi_u32 v14, v7, v8
	v_mul_lo_u32 v8, v7, v8
	v_add_co_u32 v10, vcc_lo, v10, v11
	v_add_co_ci_u32_e32 v11, vcc_lo, 0, v12, vcc_lo
	s_delay_alu instid0(VALU_DEP_2) | instskip(NEXT) | instid1(VALU_DEP_2)
	v_add_co_u32 v9, vcc_lo, v10, v9
	v_add_co_ci_u32_e32 v9, vcc_lo, v11, v13, vcc_lo
	v_add_co_ci_u32_e32 v10, vcc_lo, 0, v14, vcc_lo
	s_delay_alu instid0(VALU_DEP_2) | instskip(NEXT) | instid1(VALU_DEP_2)
	v_add_co_u32 v8, vcc_lo, v9, v8
	v_add_co_ci_u32_e32 v9, vcc_lo, 0, v10, vcc_lo
	s_delay_alu instid0(VALU_DEP_2) | instskip(NEXT) | instid1(VALU_DEP_2)
	v_add_co_u32 v2, vcc_lo, v2, v8
	v_add_co_ci_u32_e32 v13, vcc_lo, v7, v9, vcc_lo
	s_delay_alu instid0(VALU_DEP_2) | instskip(SKIP_1) | instid1(VALU_DEP_3)
	v_mul_hi_u32 v14, v5, v2
	v_mad_u64_u32 v[9:10], null, v6, v2, 0
	v_mad_u64_u32 v[7:8], null, v5, v13, 0
	;; [unrolled: 1-line block ×3, first 2 shown]
	s_delay_alu instid0(VALU_DEP_2) | instskip(NEXT) | instid1(VALU_DEP_3)
	v_add_co_u32 v2, vcc_lo, v14, v7
	v_add_co_ci_u32_e32 v7, vcc_lo, 0, v8, vcc_lo
	s_delay_alu instid0(VALU_DEP_2) | instskip(NEXT) | instid1(VALU_DEP_2)
	v_add_co_u32 v2, vcc_lo, v2, v9
	v_add_co_ci_u32_e32 v2, vcc_lo, v7, v10, vcc_lo
	v_add_co_ci_u32_e32 v7, vcc_lo, 0, v12, vcc_lo
	s_delay_alu instid0(VALU_DEP_2) | instskip(NEXT) | instid1(VALU_DEP_2)
	v_add_co_u32 v2, vcc_lo, v2, v11
	v_add_co_ci_u32_e32 v9, vcc_lo, 0, v7, vcc_lo
	s_delay_alu instid0(VALU_DEP_2) | instskip(SKIP_1) | instid1(VALU_DEP_3)
	v_mul_lo_u32 v10, s19, v2
	v_mad_u64_u32 v[7:8], null, s18, v2, 0
	v_mul_lo_u32 v11, s18, v9
	s_delay_alu instid0(VALU_DEP_2) | instskip(NEXT) | instid1(VALU_DEP_2)
	v_sub_co_u32 v7, vcc_lo, v5, v7
	v_add3_u32 v8, v8, v11, v10
	s_delay_alu instid0(VALU_DEP_1) | instskip(NEXT) | instid1(VALU_DEP_1)
	v_sub_nc_u32_e32 v10, v6, v8
	v_subrev_co_ci_u32_e64 v10, s2, s19, v10, vcc_lo
	v_add_co_u32 v11, s2, v2, 2
	s_delay_alu instid0(VALU_DEP_1) | instskip(SKIP_3) | instid1(VALU_DEP_3)
	v_add_co_ci_u32_e64 v12, s2, 0, v9, s2
	v_sub_co_u32 v13, s2, v7, s18
	v_sub_co_ci_u32_e32 v8, vcc_lo, v6, v8, vcc_lo
	v_subrev_co_ci_u32_e64 v10, s2, 0, v10, s2
	v_cmp_le_u32_e32 vcc_lo, s18, v13
	s_delay_alu instid0(VALU_DEP_3) | instskip(SKIP_1) | instid1(VALU_DEP_4)
	v_cmp_eq_u32_e64 s2, s19, v8
	v_cndmask_b32_e64 v13, 0, -1, vcc_lo
	v_cmp_le_u32_e32 vcc_lo, s19, v10
	v_cndmask_b32_e64 v14, 0, -1, vcc_lo
	v_cmp_le_u32_e32 vcc_lo, s18, v7
	;; [unrolled: 2-line block ×3, first 2 shown]
	v_cndmask_b32_e64 v15, 0, -1, vcc_lo
	v_cmp_eq_u32_e32 vcc_lo, s19, v10
	s_delay_alu instid0(VALU_DEP_2) | instskip(SKIP_3) | instid1(VALU_DEP_3)
	v_cndmask_b32_e64 v7, v15, v7, s2
	v_cndmask_b32_e32 v10, v14, v13, vcc_lo
	v_add_co_u32 v13, vcc_lo, v2, 1
	v_add_co_ci_u32_e32 v14, vcc_lo, 0, v9, vcc_lo
	v_cmp_ne_u32_e32 vcc_lo, 0, v10
	s_delay_alu instid0(VALU_DEP_2) | instskip(NEXT) | instid1(VALU_DEP_4)
	v_cndmask_b32_e32 v8, v14, v12, vcc_lo
	v_cndmask_b32_e32 v10, v13, v11, vcc_lo
	v_cmp_ne_u32_e32 vcc_lo, 0, v7
	s_delay_alu instid0(VALU_DEP_2)
	v_dual_cndmask_b32 v7, v2, v10 :: v_dual_cndmask_b32 v8, v9, v8
.LBB0_4:                                ;   in Loop: Header=BB0_2 Depth=1
	s_and_not1_saveexec_b32 s2, s3
	s_cbranch_execz .LBB0_6
; %bb.5:                                ;   in Loop: Header=BB0_2 Depth=1
	v_cvt_f32_u32_e32 v2, s18
	s_sub_i32 s3, 0, s18
	s_delay_alu instid0(VALU_DEP_1) | instskip(SKIP_2) | instid1(VALU_DEP_1)
	v_rcp_iflag_f32_e32 v2, v2
	s_waitcnt_depctr 0xfff
	v_mul_f32_e32 v2, 0x4f7ffffe, v2
	v_cvt_u32_f32_e32 v2, v2
	s_delay_alu instid0(VALU_DEP_1) | instskip(NEXT) | instid1(VALU_DEP_1)
	v_mul_lo_u32 v7, s3, v2
	v_mul_hi_u32 v7, v2, v7
	s_delay_alu instid0(VALU_DEP_1) | instskip(NEXT) | instid1(VALU_DEP_1)
	v_add_nc_u32_e32 v2, v2, v7
	v_mul_hi_u32 v2, v5, v2
	s_delay_alu instid0(VALU_DEP_1) | instskip(SKIP_1) | instid1(VALU_DEP_2)
	v_mul_lo_u32 v7, v2, s18
	v_add_nc_u32_e32 v8, 1, v2
	v_sub_nc_u32_e32 v7, v5, v7
	s_delay_alu instid0(VALU_DEP_1) | instskip(SKIP_1) | instid1(VALU_DEP_2)
	v_subrev_nc_u32_e32 v9, s18, v7
	v_cmp_le_u32_e32 vcc_lo, s18, v7
	v_dual_cndmask_b32 v7, v7, v9 :: v_dual_cndmask_b32 v2, v2, v8
	s_delay_alu instid0(VALU_DEP_1) | instskip(NEXT) | instid1(VALU_DEP_2)
	v_cmp_le_u32_e32 vcc_lo, s18, v7
	v_add_nc_u32_e32 v8, 1, v2
	s_delay_alu instid0(VALU_DEP_1)
	v_dual_cndmask_b32 v7, v2, v8 :: v_dual_mov_b32 v8, v1
.LBB0_6:                                ;   in Loop: Header=BB0_2 Depth=1
	s_or_b32 exec_lo, exec_lo, s2
	s_load_b64 s[2:3], s[12:13], 0x0
	s_delay_alu instid0(VALU_DEP_1) | instskip(NEXT) | instid1(VALU_DEP_2)
	v_mul_lo_u32 v2, v8, s18
	v_mul_lo_u32 v11, v7, s19
	v_mad_u64_u32 v[9:10], null, v7, s18, 0
	s_add_u32 s16, s16, 1
	s_addc_u32 s17, s17, 0
	s_add_u32 s12, s12, 8
	s_addc_u32 s13, s13, 0
	;; [unrolled: 2-line block ×3, first 2 shown]
	s_delay_alu instid0(VALU_DEP_1) | instskip(SKIP_1) | instid1(VALU_DEP_2)
	v_add3_u32 v2, v10, v11, v2
	v_sub_co_u32 v9, vcc_lo, v5, v9
	v_sub_co_ci_u32_e32 v2, vcc_lo, v6, v2, vcc_lo
	s_waitcnt lgkmcnt(0)
	s_delay_alu instid0(VALU_DEP_2) | instskip(NEXT) | instid1(VALU_DEP_2)
	v_mul_lo_u32 v10, s3, v9
	v_mul_lo_u32 v2, s2, v2
	v_mad_u64_u32 v[5:6], null, s2, v9, v[3:4]
	v_cmp_ge_u64_e64 s2, s[16:17], s[6:7]
	s_delay_alu instid0(VALU_DEP_1) | instskip(NEXT) | instid1(VALU_DEP_2)
	s_and_b32 vcc_lo, exec_lo, s2
	v_add3_u32 v4, v10, v6, v2
	s_delay_alu instid0(VALU_DEP_3)
	v_mov_b32_e32 v3, v5
	s_cbranch_vccnz .LBB0_9
; %bb.7:                                ;   in Loop: Header=BB0_2 Depth=1
	v_dual_mov_b32 v5, v7 :: v_dual_mov_b32 v6, v8
	s_branch .LBB0_2
.LBB0_8:
	v_dual_mov_b32 v8, v6 :: v_dual_mov_b32 v7, v5
.LBB0_9:
	s_lshl_b64 s[2:3], s[6:7], 3
	s_delay_alu instid0(SALU_CYCLE_1)
	s_add_u32 s2, s10, s2
	s_addc_u32 s3, s11, s3
	s_load_b64 s[2:3], s[2:3], 0x0
	s_load_b64 s[0:1], s[0:1], 0x20
	s_waitcnt lgkmcnt(0)
	v_mul_lo_u32 v5, s2, v8
	v_mul_lo_u32 v6, s3, v7
	v_mad_u64_u32 v[1:2], null, s2, v7, v[3:4]
	v_mul_hi_u32 v3, 0x226b903, v0
	v_cmp_gt_u64_e32 vcc_lo, s[0:1], v[7:8]
	s_delay_alu instid0(VALU_DEP_3) | instskip(NEXT) | instid1(VALU_DEP_3)
	v_add3_u32 v2, v6, v2, v5
	v_mul_u32_u24_e32 v3, 0x77, v3
	s_delay_alu instid0(VALU_DEP_2) | instskip(NEXT) | instid1(VALU_DEP_2)
	v_lshlrev_b64 v[86:87], 4, v[1:2]
	v_sub_nc_u32_e32 v84, v0, v3
	s_and_saveexec_b32 s1, vcc_lo
	s_cbranch_execz .LBB0_13
; %bb.10:
	v_mov_b32_e32 v85, 0
	s_delay_alu instid0(VALU_DEP_3) | instskip(NEXT) | instid1(VALU_DEP_1)
	v_add_co_u32 v0, s0, s8, v86
	v_add_co_ci_u32_e64 v1, s0, s9, v87, s0
	s_delay_alu instid0(VALU_DEP_3) | instskip(SKIP_2) | instid1(VALU_DEP_2)
	v_lshlrev_b64 v[2:3], 4, v[84:85]
	v_lshl_add_u32 v66, v84, 4, 0
	s_mov_b32 s2, exec_lo
	v_add_co_u32 v34, s0, v0, v2
	s_delay_alu instid0(VALU_DEP_1) | instskip(SKIP_4) | instid1(VALU_DEP_1)
	v_add_co_ci_u32_e64 v35, s0, v1, v3, s0
	s_clause 0x1
	global_load_b128 v[2:5], v[34:35], off
	global_load_b128 v[6:9], v[34:35], off offset:1904
	v_add_co_u32 v18, s0, 0x1000, v34
	v_add_co_ci_u32_e64 v19, s0, 0, v35, s0
	v_add_co_u32 v26, s0, 0x2000, v34
	s_delay_alu instid0(VALU_DEP_1) | instskip(SKIP_1) | instid1(VALU_DEP_1)
	v_add_co_ci_u32_e64 v27, s0, 0, v35, s0
	v_add_co_u32 v36, s0, 0x3000, v34
	v_add_co_ci_u32_e64 v37, s0, 0, v35, s0
	v_add_co_u32 v42, s0, 0x4000, v34
	s_delay_alu instid0(VALU_DEP_1) | instskip(SKIP_1) | instid1(VALU_DEP_1)
	v_add_co_ci_u32_e64 v43, s0, 0, v35, s0
	v_add_co_u32 v50, s0, 0x5000, v34
	v_add_co_ci_u32_e64 v51, s0, 0, v35, s0
	v_add_co_u32 v62, s0, 0x6000, v34
	s_delay_alu instid0(VALU_DEP_1)
	v_add_co_ci_u32_e64 v63, s0, 0, v35, s0
	s_clause 0xd
	global_load_b128 v[10:13], v[34:35], off offset:3808
	global_load_b128 v[14:17], v[18:19], off offset:1616
	;; [unrolled: 1-line block ×14, first 2 shown]
	s_waitcnt vmcnt(15)
	ds_store_b128 v66, v[2:5]
	s_waitcnt vmcnt(14)
	ds_store_b128 v66, v[6:9] offset:1904
	s_waitcnt vmcnt(13)
	ds_store_b128 v66, v[10:13] offset:3808
	;; [unrolled: 2-line block ×15, first 2 shown]
	v_cmpx_eq_u32_e32 0x76, v84
	s_cbranch_execz .LBB0_12
; %bb.11:
	v_add_co_u32 v0, s0, 0x7000, v0
	s_delay_alu instid0(VALU_DEP_1)
	v_add_co_ci_u32_e64 v1, s0, 0, v1, s0
	v_mov_b32_e32 v84, 0x76
	global_load_b128 v[0:3], v[0:1], off offset:1792
	s_waitcnt vmcnt(0)
	ds_store_b128 v85, v[0:3] offset:30464
.LBB0_12:
	s_or_b32 exec_lo, exec_lo, s2
.LBB0_13:
	s_delay_alu instid0(SALU_CYCLE_1) | instskip(NEXT) | instid1(VALU_DEP_1)
	s_or_b32 exec_lo, exec_lo, s1
	v_lshlrev_b32_e32 v0, 4, v84
	s_waitcnt lgkmcnt(0)
	s_barrier
	buffer_gl0_inv
	s_add_u32 s1, s4, 0x75f0
	v_add_nc_u32_e32 v172, 0, v0
	v_sub_nc_u32_e32 v10, 0, v0
	s_addc_u32 s2, s5, 0
	s_mov_b32 s3, exec_lo
                                        ; implicit-def: $vgpr4_vgpr5
	ds_load_b64 v[6:7], v172
	ds_load_b64 v[8:9], v10 offset:30464
	s_waitcnt lgkmcnt(0)
	v_add_f64 v[0:1], v[6:7], v[8:9]
	v_add_f64 v[2:3], v[6:7], -v[8:9]
	v_cmpx_ne_u32_e32 0, v84
	s_xor_b32 s3, exec_lo, s3
	s_cbranch_execz .LBB0_15
; %bb.14:
	v_mov_b32_e32 v85, 0
	v_add_f64 v[13:14], v[6:7], v[8:9]
	v_add_f64 v[15:16], v[6:7], -v[8:9]
	s_delay_alu instid0(VALU_DEP_3) | instskip(NEXT) | instid1(VALU_DEP_1)
	v_lshlrev_b64 v[0:1], 4, v[84:85]
	v_add_co_u32 v0, s0, s1, v0
	s_delay_alu instid0(VALU_DEP_1)
	v_add_co_ci_u32_e64 v1, s0, s2, v1, s0
	global_load_b128 v[2:5], v[0:1], off
	ds_load_b64 v[0:1], v10 offset:30472
	ds_load_b64 v[11:12], v172 offset:8
	s_waitcnt lgkmcnt(0)
	v_add_f64 v[6:7], v[0:1], v[11:12]
	v_add_f64 v[0:1], v[11:12], -v[0:1]
	s_waitcnt vmcnt(0)
	v_fma_f64 v[8:9], v[15:16], v[4:5], v[13:14]
	v_fma_f64 v[11:12], -v[15:16], v[4:5], v[13:14]
	s_delay_alu instid0(VALU_DEP_3) | instskip(SKIP_1) | instid1(VALU_DEP_4)
	v_fma_f64 v[13:14], v[6:7], v[4:5], -v[0:1]
	v_fma_f64 v[4:5], v[6:7], v[4:5], v[0:1]
	v_fma_f64 v[0:1], -v[6:7], v[2:3], v[8:9]
	s_delay_alu instid0(VALU_DEP_4) | instskip(NEXT) | instid1(VALU_DEP_4)
	v_fma_f64 v[6:7], v[6:7], v[2:3], v[11:12]
	v_fma_f64 v[8:9], v[15:16], v[2:3], v[13:14]
	s_delay_alu instid0(VALU_DEP_4)
	v_fma_f64 v[2:3], v[15:16], v[2:3], v[4:5]
	v_dual_mov_b32 v4, v84 :: v_dual_mov_b32 v5, v85
	ds_store_b128 v10, v[6:9] offset:30464
.LBB0_15:
	s_and_not1_saveexec_b32 s0, s3
	s_cbranch_execz .LBB0_17
; %bb.16:
	v_mov_b32_e32 v8, 0
	ds_load_b128 v[4:7], v8 offset:15232
	s_waitcnt lgkmcnt(0)
	v_add_f64 v[11:12], v[4:5], v[4:5]
	v_mul_f64 v[13:14], v[6:7], -2.0
	v_mov_b32_e32 v4, 0
	v_mov_b32_e32 v5, 0
	ds_store_b128 v8, v[11:14] offset:15232
.LBB0_17:
	s_or_b32 exec_lo, exec_lo, s0
	v_lshlrev_b64 v[4:5], 4, v[4:5]
	s_mov_b32 s18, 0x5d8e7cdc
	s_mov_b32 s19, 0xbfd71e95
	;; [unrolled: 1-line block ×5, first 2 shown]
	v_add_co_u32 v23, s0, s1, v4
	s_delay_alu instid0(VALU_DEP_1) | instskip(SKIP_1) | instid1(VALU_DEP_2)
	v_add_co_ci_u32_e64 v24, s0, s2, v5, s0
	s_mov_b32 s2, 0x370991
	v_add_co_u32 v25, s0, 0x1000, v23
	s_clause 0x1
	global_load_b128 v[4:7], v[23:24], off offset:1904
	global_load_b128 v[11:14], v[23:24], off offset:3808
	ds_store_b128 v172, v[0:3]
	ds_load_b128 v[0:3], v172 offset:1904
	ds_load_b128 v[15:18], v10 offset:28560
	v_add_co_ci_u32_e64 v26, s0, 0, v24, s0
	s_mov_b32 s3, 0x3fedd6d0
	s_mov_b32 s11, 0x3fe7a5f6
	;; [unrolled: 1-line block ×3, first 2 shown]
	global_load_b128 v[19:22], v[25:26], off offset:1616
	s_mov_b32 s6, 0x2b2883cd
	s_mov_b32 s25, 0xbfeca52d
	;; [unrolled: 1-line block ×13, first 2 shown]
	s_waitcnt lgkmcnt(0)
	v_add_f64 v[8:9], v[0:1], v[15:16]
	v_add_f64 v[27:28], v[17:18], v[2:3]
	v_add_f64 v[15:16], v[0:1], -v[15:16]
	v_add_f64 v[0:1], v[2:3], -v[17:18]
	s_mov_b32 s21, 0xbfe348c8
	s_mov_b32 s29, 0xbfe9895b
	;; [unrolled: 1-line block ×10, first 2 shown]
	s_mov_b32 s33, exec_lo
	s_waitcnt vmcnt(2)
	s_delay_alu instid0(VALU_DEP_2) | instskip(NEXT) | instid1(VALU_DEP_2)
	v_fma_f64 v[2:3], v[15:16], v[6:7], v[8:9]
	v_fma_f64 v[17:18], v[27:28], v[6:7], v[0:1]
	v_fma_f64 v[8:9], -v[15:16], v[6:7], v[8:9]
	v_fma_f64 v[29:30], v[27:28], v[6:7], -v[0:1]
	s_delay_alu instid0(VALU_DEP_4) | instskip(NEXT) | instid1(VALU_DEP_4)
	v_fma_f64 v[0:1], -v[27:28], v[4:5], v[2:3]
	v_fma_f64 v[2:3], v[15:16], v[4:5], v[17:18]
	s_delay_alu instid0(VALU_DEP_4) | instskip(NEXT) | instid1(VALU_DEP_4)
	v_fma_f64 v[6:7], v[27:28], v[4:5], v[8:9]
	v_fma_f64 v[8:9], v[15:16], v[4:5], v[29:30]
	ds_store_b128 v172, v[0:3] offset:1904
	ds_store_b128 v10, v[6:9] offset:28560
	ds_load_b128 v[0:3], v172 offset:3808
	ds_load_b128 v[4:7], v10 offset:26656
	global_load_b128 v[15:18], v[25:26], off offset:3520
	s_waitcnt lgkmcnt(0)
	v_add_f64 v[8:9], v[0:1], v[4:5]
	v_add_f64 v[25:26], v[6:7], v[2:3]
	v_add_f64 v[27:28], v[0:1], -v[4:5]
	v_add_f64 v[0:1], v[2:3], -v[6:7]
	s_waitcnt vmcnt(2)
	s_delay_alu instid0(VALU_DEP_2) | instskip(NEXT) | instid1(VALU_DEP_2)
	v_fma_f64 v[2:3], v[27:28], v[13:14], v[8:9]
	v_fma_f64 v[4:5], v[25:26], v[13:14], v[0:1]
	v_fma_f64 v[6:7], -v[27:28], v[13:14], v[8:9]
	v_fma_f64 v[8:9], v[25:26], v[13:14], -v[0:1]
	s_delay_alu instid0(VALU_DEP_4) | instskip(NEXT) | instid1(VALU_DEP_4)
	v_fma_f64 v[0:1], -v[25:26], v[11:12], v[2:3]
	v_fma_f64 v[2:3], v[27:28], v[11:12], v[4:5]
	s_delay_alu instid0(VALU_DEP_4) | instskip(NEXT) | instid1(VALU_DEP_4)
	v_fma_f64 v[4:5], v[25:26], v[11:12], v[6:7]
	v_fma_f64 v[6:7], v[27:28], v[11:12], v[8:9]
	v_add_co_u32 v8, s0, 0x2000, v23
	s_delay_alu instid0(VALU_DEP_1)
	v_add_co_ci_u32_e64 v9, s0, 0, v24, s0
	ds_store_b128 v172, v[0:3] offset:3808
	ds_store_b128 v10, v[4:7] offset:26656
	ds_load_b128 v[0:3], v172 offset:5712
	ds_load_b128 v[4:7], v10 offset:24752
	global_load_b128 v[11:14], v[8:9], off offset:1328
	s_waitcnt lgkmcnt(0)
	v_add_f64 v[25:26], v[0:1], v[4:5]
	v_add_f64 v[27:28], v[6:7], v[2:3]
	v_add_f64 v[29:30], v[0:1], -v[4:5]
	v_add_f64 v[0:1], v[2:3], -v[6:7]
	s_waitcnt vmcnt(2)
	s_delay_alu instid0(VALU_DEP_2) | instskip(NEXT) | instid1(VALU_DEP_2)
	v_fma_f64 v[2:3], v[29:30], v[21:22], v[25:26]
	v_fma_f64 v[4:5], v[27:28], v[21:22], v[0:1]
	v_fma_f64 v[6:7], -v[29:30], v[21:22], v[25:26]
	v_fma_f64 v[21:22], v[27:28], v[21:22], -v[0:1]
	s_delay_alu instid0(VALU_DEP_4) | instskip(NEXT) | instid1(VALU_DEP_4)
	v_fma_f64 v[0:1], -v[27:28], v[19:20], v[2:3]
	v_fma_f64 v[2:3], v[29:30], v[19:20], v[4:5]
	s_delay_alu instid0(VALU_DEP_4) | instskip(NEXT) | instid1(VALU_DEP_4)
	v_fma_f64 v[4:5], v[27:28], v[19:20], v[6:7]
	v_fma_f64 v[6:7], v[29:30], v[19:20], v[21:22]
	ds_store_b128 v172, v[0:3] offset:5712
	ds_store_b128 v10, v[4:7] offset:24752
	ds_load_b128 v[0:3], v172 offset:7616
	ds_load_b128 v[4:7], v10 offset:22848
	global_load_b128 v[19:22], v[8:9], off offset:3232
	s_waitcnt lgkmcnt(0)
	v_add_f64 v[8:9], v[0:1], v[4:5]
	v_add_f64 v[25:26], v[6:7], v[2:3]
	v_add_f64 v[27:28], v[0:1], -v[4:5]
	v_add_f64 v[0:1], v[2:3], -v[6:7]
	s_waitcnt vmcnt(2)
	s_delay_alu instid0(VALU_DEP_2) | instskip(NEXT) | instid1(VALU_DEP_2)
	v_fma_f64 v[2:3], v[27:28], v[17:18], v[8:9]
	v_fma_f64 v[4:5], v[25:26], v[17:18], v[0:1]
	v_fma_f64 v[6:7], -v[27:28], v[17:18], v[8:9]
	v_fma_f64 v[8:9], v[25:26], v[17:18], -v[0:1]
	s_delay_alu instid0(VALU_DEP_4) | instskip(NEXT) | instid1(VALU_DEP_4)
	v_fma_f64 v[0:1], -v[25:26], v[15:16], v[2:3]
	v_fma_f64 v[2:3], v[27:28], v[15:16], v[4:5]
	s_delay_alu instid0(VALU_DEP_4) | instskip(NEXT) | instid1(VALU_DEP_4)
	v_fma_f64 v[4:5], v[25:26], v[15:16], v[6:7]
	v_fma_f64 v[6:7], v[27:28], v[15:16], v[8:9]
	v_add_co_u32 v8, s0, 0x3000, v23
	s_delay_alu instid0(VALU_DEP_1)
	v_add_co_ci_u32_e64 v9, s0, 0, v24, s0
	ds_store_b128 v172, v[0:3] offset:7616
	ds_store_b128 v10, v[4:7] offset:22848
	ds_load_b128 v[0:3], v172 offset:9520
	ds_load_b128 v[4:7], v10 offset:20944
	global_load_b128 v[15:18], v[8:9], off offset:1040
	s_waitcnt lgkmcnt(0)
	v_add_f64 v[8:9], v[0:1], v[4:5]
	v_add_f64 v[23:24], v[6:7], v[2:3]
	v_add_f64 v[25:26], v[0:1], -v[4:5]
	v_add_f64 v[0:1], v[2:3], -v[6:7]
	s_waitcnt vmcnt(2)
	s_delay_alu instid0(VALU_DEP_2) | instskip(NEXT) | instid1(VALU_DEP_2)
	v_fma_f64 v[2:3], v[25:26], v[13:14], v[8:9]
	v_fma_f64 v[4:5], v[23:24], v[13:14], v[0:1]
	v_fma_f64 v[6:7], -v[25:26], v[13:14], v[8:9]
	v_fma_f64 v[8:9], v[23:24], v[13:14], -v[0:1]
	s_delay_alu instid0(VALU_DEP_4) | instskip(NEXT) | instid1(VALU_DEP_4)
	v_fma_f64 v[0:1], -v[23:24], v[11:12], v[2:3]
	v_fma_f64 v[2:3], v[25:26], v[11:12], v[4:5]
	s_delay_alu instid0(VALU_DEP_4) | instskip(NEXT) | instid1(VALU_DEP_4)
	v_fma_f64 v[4:5], v[23:24], v[11:12], v[6:7]
	v_fma_f64 v[6:7], v[25:26], v[11:12], v[8:9]
	ds_store_b128 v172, v[0:3] offset:9520
	ds_store_b128 v10, v[4:7] offset:20944
	ds_load_b128 v[0:3], v172 offset:11424
	ds_load_b128 v[4:7], v10 offset:19040
	s_waitcnt lgkmcnt(0)
	v_add_f64 v[8:9], v[0:1], v[4:5]
	v_add_f64 v[11:12], v[6:7], v[2:3]
	v_add_f64 v[13:14], v[0:1], -v[4:5]
	v_add_f64 v[0:1], v[2:3], -v[6:7]
	s_waitcnt vmcnt(1)
	s_delay_alu instid0(VALU_DEP_2) | instskip(NEXT) | instid1(VALU_DEP_2)
	v_fma_f64 v[2:3], v[13:14], v[21:22], v[8:9]
	v_fma_f64 v[4:5], v[11:12], v[21:22], v[0:1]
	v_fma_f64 v[6:7], -v[13:14], v[21:22], v[8:9]
	v_fma_f64 v[8:9], v[11:12], v[21:22], -v[0:1]
	s_delay_alu instid0(VALU_DEP_4) | instskip(NEXT) | instid1(VALU_DEP_4)
	v_fma_f64 v[0:1], -v[11:12], v[19:20], v[2:3]
	v_fma_f64 v[2:3], v[13:14], v[19:20], v[4:5]
	s_delay_alu instid0(VALU_DEP_4) | instskip(NEXT) | instid1(VALU_DEP_4)
	v_fma_f64 v[4:5], v[11:12], v[19:20], v[6:7]
	v_fma_f64 v[6:7], v[13:14], v[19:20], v[8:9]
	ds_store_b128 v172, v[0:3] offset:11424
	ds_store_b128 v10, v[4:7] offset:19040
	ds_load_b128 v[0:3], v172 offset:13328
	ds_load_b128 v[4:7], v10 offset:17136
	s_waitcnt lgkmcnt(0)
	v_add_f64 v[8:9], v[0:1], v[4:5]
	v_add_f64 v[11:12], v[6:7], v[2:3]
	v_add_f64 v[13:14], v[0:1], -v[4:5]
	v_add_f64 v[0:1], v[2:3], -v[6:7]
	s_waitcnt vmcnt(0)
	s_delay_alu instid0(VALU_DEP_2) | instskip(NEXT) | instid1(VALU_DEP_2)
	v_fma_f64 v[2:3], v[13:14], v[17:18], v[8:9]
	v_fma_f64 v[4:5], v[11:12], v[17:18], v[0:1]
	v_fma_f64 v[6:7], -v[13:14], v[17:18], v[8:9]
	v_fma_f64 v[8:9], v[11:12], v[17:18], -v[0:1]
	s_delay_alu instid0(VALU_DEP_4) | instskip(NEXT) | instid1(VALU_DEP_4)
	v_fma_f64 v[0:1], -v[11:12], v[15:16], v[2:3]
	v_fma_f64 v[2:3], v[13:14], v[15:16], v[4:5]
	s_delay_alu instid0(VALU_DEP_4) | instskip(NEXT) | instid1(VALU_DEP_4)
	v_fma_f64 v[4:5], v[11:12], v[15:16], v[6:7]
	v_fma_f64 v[6:7], v[13:14], v[15:16], v[8:9]
	ds_store_b128 v172, v[0:3] offset:13328
	ds_store_b128 v10, v[4:7] offset:17136
	s_waitcnt lgkmcnt(0)
	s_barrier
	buffer_gl0_inv
	s_barrier
	buffer_gl0_inv
	ds_load_b128 v[8:11], v172 offset:28672
	ds_load_b128 v[32:35], v172 offset:1792
	ds_load_b128 v[4:7], v172
	ds_load_b128 v[12:15], v172 offset:26880
	ds_load_b128 v[40:43], v172 offset:3584
	;; [unrolled: 1-line block ×8, first 2 shown]
	s_waitcnt lgkmcnt(9)
	v_add_f64 v[156:157], v[34:35], -v[10:11]
	v_add_f64 v[164:165], v[34:35], v[10:11]
	v_add_f64 v[152:153], v[32:33], v[8:9]
	s_waitcnt lgkmcnt(6)
	v_add_f64 v[94:95], v[42:43], -v[14:15]
	v_add_f64 v[168:169], v[32:33], -v[8:9]
	v_add_f64 v[72:73], v[42:43], v[14:15]
	v_add_f64 v[74:75], v[40:41], v[12:13]
	s_waitcnt lgkmcnt(4)
	v_add_f64 v[98:99], v[46:47], -v[18:19]
	v_add_f64 v[100:101], v[40:41], -v[12:13]
	v_add_f64 v[76:77], v[46:47], v[18:19]
	v_add_f64 v[78:79], v[44:45], v[16:17]
	v_add_f64 v[114:115], v[44:45], -v[16:17]
	s_waitcnt lgkmcnt(2)
	v_add_f64 v[110:111], v[50:51], -v[22:23]
	v_add_f64 v[80:81], v[50:51], v[22:23]
	v_add_f64 v[82:83], v[48:49], v[20:21]
	v_add_f64 v[116:117], v[48:49], -v[20:21]
	s_waitcnt lgkmcnt(0)
	v_add_f64 v[112:113], v[54:55], -v[26:27]
	v_add_f64 v[88:89], v[54:55], v[26:27]
	v_add_f64 v[90:91], v[52:53], v[24:25]
	v_add_f64 v[122:123], v[52:53], -v[24:25]
	v_mul_f64 v[154:155], v[156:157], s[18:19]
	v_mul_f64 v[170:171], v[164:165], s[2:3]
	;; [unrolled: 1-line block ×10, first 2 shown]
	v_fma_f64 v[0:1], v[152:153], s[2:3], -v[154:155]
	v_fma_f64 v[2:3], v[168:169], s[18:19], v[170:171]
	v_fma_f64 v[28:29], v[74:75], s[10:11], -v[132:133]
	v_fma_f64 v[30:31], v[100:101], s[16:17], v[134:135]
	;; [unrolled: 2-line block ×5, first 2 shown]
	v_add_f64 v[0:1], v[4:5], v[0:1]
	v_add_f64 v[2:3], v[6:7], v[2:3]
	s_delay_alu instid0(VALU_DEP_2) | instskip(NEXT) | instid1(VALU_DEP_2)
	v_add_f64 v[0:1], v[28:29], v[0:1]
	v_add_f64 v[2:3], v[30:31], v[2:3]
	ds_load_b128 v[28:31], v172 offset:19712
	ds_load_b128 v[60:63], v172 offset:10752
	;; [unrolled: 1-line block ×4, first 2 shown]
	s_waitcnt lgkmcnt(2)
	v_add_f64 v[118:119], v[62:63], -v[30:31]
	v_add_f64 v[92:93], v[62:63], v[30:31]
	v_add_f64 v[96:97], v[60:61], v[28:29]
	v_add_f64 v[124:125], v[60:61], -v[28:29]
	s_waitcnt lgkmcnt(0)
	v_add_f64 v[120:121], v[66:67], -v[38:39]
	v_add_f64 v[102:103], v[66:67], v[38:39]
	v_add_f64 v[104:105], v[64:65], v[36:37]
	v_add_f64 v[128:129], v[64:65], -v[36:37]
	v_add_f64 v[0:1], v[56:57], v[0:1]
	v_add_f64 v[2:3], v[58:59], v[2:3]
	v_mul_f64 v[148:149], v[118:119], s[28:29]
	v_mul_f64 v[150:151], v[92:93], s[20:21]
	;; [unrolled: 1-line block ×4, first 2 shown]
	v_add_f64 v[0:1], v[68:69], v[0:1]
	v_add_f64 v[2:3], v[70:71], v[2:3]
	ds_load_b128 v[68:71], v172 offset:14336
	ds_load_b128 v[56:59], v172 offset:16128
	s_waitcnt lgkmcnt(0)
	s_barrier
	buffer_gl0_inv
	v_add_f64 v[126:127], v[70:71], -v[58:59]
	v_add_f64 v[106:107], v[70:71], v[58:59]
	v_fma_f64 v[173:174], v[96:97], s[20:21], -v[148:149]
	v_fma_f64 v[175:176], v[124:125], s[28:29], v[150:151]
	v_fma_f64 v[177:178], v[104:105], s[22:23], -v[158:159]
	v_fma_f64 v[179:180], v[128:129], s[34:35], v[162:163]
	v_add_f64 v[0:1], v[108:109], v[0:1]
	v_add_f64 v[2:3], v[130:131], v[2:3]
	;; [unrolled: 1-line block ×3, first 2 shown]
	v_add_f64 v[130:131], v[68:69], -v[56:57]
	v_mul_f64 v[160:161], v[126:127], s[36:37]
	v_mul_f64 v[166:167], v[106:107], s[26:27]
	v_add_f64 v[0:1], v[173:174], v[0:1]
	v_add_f64 v[2:3], v[175:176], v[2:3]
	s_delay_alu instid0(VALU_DEP_4) | instskip(NEXT) | instid1(VALU_DEP_4)
	v_fma_f64 v[173:174], v[108:109], s[26:27], -v[160:161]
	v_fma_f64 v[175:176], v[130:131], s[36:37], v[166:167]
	s_delay_alu instid0(VALU_DEP_4) | instskip(NEXT) | instid1(VALU_DEP_4)
	v_add_f64 v[0:1], v[177:178], v[0:1]
	v_add_f64 v[2:3], v[179:180], v[2:3]
	s_delay_alu instid0(VALU_DEP_2) | instskip(NEXT) | instid1(VALU_DEP_2)
	v_add_f64 v[0:1], v[173:174], v[0:1]
	v_add_f64 v[2:3], v[175:176], v[2:3]
	v_cmpx_gt_u32_e32 0x70, v84
	s_cbranch_execz .LBB0_19
; %bb.18:
	v_add_f64 v[32:33], v[4:5], v[32:33]
	v_add_f64 v[34:35], v[6:7], v[34:35]
	s_mov_b32 s45, 0x3fd71e95
	s_mov_b32 s44, s18
	;; [unrolled: 1-line block ×9, first 2 shown]
	v_mul_f64 v[183:184], v[130:131], s[40:41]
	v_mul_f64 v[185:186], v[126:127], s[40:41]
	s_mov_b32 s46, s28
	s_mov_b32 s49, 0x3fe0d888
	;; [unrolled: 1-line block ×5, first 2 shown]
	v_mul_f64 v[187:188], v[124:125], s[18:19]
	v_mul_f64 v[189:190], v[118:119], s[18:19]
	;; [unrolled: 1-line block ×20, first 2 shown]
	v_add_f64 v[32:33], v[32:33], v[40:41]
	v_add_f64 v[34:35], v[34:35], v[42:43]
	v_mul_f64 v[42:43], v[156:157], s[36:37]
	v_mul_f64 v[40:41], v[168:169], s[18:19]
	;; [unrolled: 1-line block ×11, first 2 shown]
	v_add_f64 v[32:33], v[32:33], v[44:45]
	v_add_f64 v[34:35], v[34:35], v[46:47]
	v_mul_f64 v[44:45], v[156:157], s[34:35]
	v_mul_f64 v[46:47], v[156:157], s[28:29]
	v_add_f64 v[40:41], v[170:171], -v[40:41]
	v_add_f64 v[32:33], v[32:33], v[48:49]
	v_add_f64 v[34:35], v[34:35], v[50:51]
	v_mul_f64 v[48:49], v[156:157], s[38:39]
	v_mul_f64 v[50:51], v[156:157], s[30:31]
	s_delay_alu instid0(VALU_DEP_4) | instskip(NEXT) | instid1(VALU_DEP_4)
	v_add_f64 v[32:33], v[32:33], v[52:53]
	v_add_f64 v[34:35], v[34:35], v[54:55]
	v_mul_f64 v[52:53], v[156:157], s[24:25]
	v_mul_f64 v[54:55], v[156:157], s[16:17]
	s_delay_alu instid0(VALU_DEP_4) | instskip(NEXT) | instid1(VALU_DEP_4)
	v_add_f64 v[32:33], v[32:33], v[60:61]
	v_add_f64 v[34:35], v[34:35], v[62:63]
	v_fma_f64 v[60:61], v[152:153], s[20:21], -v[46:47]
	v_fma_f64 v[46:47], v[152:153], s[20:21], v[46:47]
	v_fma_f64 v[62:63], v[152:153], s[14:15], -v[48:49]
	v_fma_f64 v[48:49], v[152:153], s[14:15], v[48:49]
	v_add_f64 v[32:33], v[32:33], v[64:65]
	v_add_f64 v[34:35], v[34:35], v[66:67]
	v_fma_f64 v[64:65], v[152:153], s[12:13], -v[50:51]
	v_fma_f64 v[50:51], v[152:153], s[12:13], v[50:51]
	v_fma_f64 v[66:67], v[152:153], s[6:7], -v[52:53]
	v_fma_f64 v[52:53], v[152:153], s[6:7], v[52:53]
	v_add_f64 v[60:61], v[4:5], v[60:61]
	v_add_f64 v[62:63], v[4:5], v[62:63]
	;; [unrolled: 1-line block ×5, first 2 shown]
	v_mul_f64 v[70:71], v[152:153], s[2:3]
	v_fma_f64 v[68:69], v[152:153], s[10:11], -v[54:55]
	v_fma_f64 v[54:55], v[152:153], s[10:11], v[54:55]
	v_add_f64 v[64:65], v[4:5], v[64:65]
	v_add_f64 v[50:51], v[4:5], v[50:51]
	;; [unrolled: 1-line block ×6, first 2 shown]
	v_fma_f64 v[56:57], v[152:153], s[26:27], -v[42:43]
	v_fma_f64 v[42:43], v[152:153], s[26:27], v[42:43]
	v_fma_f64 v[58:59], v[152:153], s[22:23], -v[44:45]
	v_fma_f64 v[44:45], v[152:153], s[22:23], v[44:45]
	v_add_f64 v[70:71], v[70:71], v[154:155]
	v_add_f64 v[32:33], v[32:33], v[36:37]
	;; [unrolled: 1-line block ×3, first 2 shown]
	v_mul_f64 v[36:37], v[168:169], s[16:17]
	v_add_f64 v[56:57], v[4:5], v[56:57]
	v_add_f64 v[42:43], v[4:5], v[42:43]
	;; [unrolled: 1-line block ×6, first 2 shown]
	v_mul_f64 v[32:33], v[168:169], s[24:25]
	v_fma_f64 v[38:39], v[164:165], s[10:11], v[36:37]
	v_fma_f64 v[36:37], v[164:165], s[10:11], -v[36:37]
	v_add_f64 v[24:25], v[28:29], v[24:25]
	v_add_f64 v[26:27], v[30:31], v[26:27]
	v_mul_f64 v[28:29], v[168:169], s[30:31]
	v_fma_f64 v[34:35], v[164:165], s[6:7], v[32:33]
	v_fma_f64 v[32:33], v[164:165], s[6:7], -v[32:33]
	v_add_f64 v[20:21], v[24:25], v[20:21]
	v_add_f64 v[22:23], v[26:27], v[22:23]
	;; [unrolled: 5-line block ×3, first 2 shown]
	v_add_f64 v[179:180], v[6:7], v[32:33]
	v_add_f64 v[32:33], v[6:7], v[36:37]
	;; [unrolled: 1-line block ×4, first 2 shown]
	v_mul_f64 v[20:21], v[168:169], s[28:29]
	v_fma_f64 v[26:27], v[164:165], s[14:15], v[24:25]
	v_fma_f64 v[24:25], v[164:165], s[14:15], -v[24:25]
	v_add_f64 v[173:174], v[6:7], v[30:31]
	v_add_f64 v[30:31], v[4:5], v[70:71]
	;; [unrolled: 1-line block ×6, first 2 shown]
	v_mul_f64 v[16:17], v[168:169], s[34:35]
	v_fma_f64 v[22:23], v[164:165], s[20:21], v[20:21]
	v_fma_f64 v[20:21], v[164:165], s[20:21], -v[20:21]
	v_add_f64 v[170:171], v[6:7], v[26:27]
	v_add_f64 v[8:9], v[12:13], v[8:9]
	v_mul_f64 v[12:13], v[168:169], s[36:37]
	v_add_f64 v[10:11], v[14:15], v[10:11]
	v_fma_f64 v[18:19], v[164:165], s[22:23], v[16:17]
	v_fma_f64 v[16:17], v[164:165], s[22:23], -v[16:17]
	v_add_f64 v[156:157], v[6:7], v[22:23]
	v_add_f64 v[168:169], v[4:5], v[46:47]
	v_mul_f64 v[22:23], v[114:115], s[34:35]
	v_add_f64 v[46:47], v[6:7], v[24:25]
	v_fma_f64 v[14:15], v[164:165], s[26:27], v[12:13]
	v_fma_f64 v[12:13], v[164:165], s[26:27], -v[12:13]
	v_add_f64 v[164:165], v[6:7], v[20:21]
	v_mul_f64 v[20:21], v[100:101], s[44:45]
	v_add_f64 v[154:155], v[6:7], v[16:17]
	v_add_f64 v[16:17], v[4:5], v[68:69]
	v_fma_f64 v[24:25], v[76:77], s[22:23], v[22:23]
	v_add_f64 v[152:153], v[6:7], v[18:19]
	v_add_f64 v[18:19], v[6:7], v[38:39]
	;; [unrolled: 1-line block ×4, first 2 shown]
	v_fma_f64 v[4:5], v[72:73], s[2:3], v[20:21]
	v_fma_f64 v[20:21], v[72:73], s[2:3], -v[20:21]
	s_delay_alu instid0(VALU_DEP_2) | instskip(SKIP_1) | instid1(VALU_DEP_3)
	v_add_f64 v[4:5], v[4:5], v[14:15]
	v_mul_f64 v[14:15], v[94:95], s[44:45]
	v_add_f64 v[12:13], v[20:21], v[12:13]
	v_fma_f64 v[20:21], v[76:77], s[22:23], -v[22:23]
	v_fma_f64 v[22:23], v[108:109], s[12:13], v[185:186]
	v_add_f64 v[4:5], v[24:25], v[4:5]
	v_fma_f64 v[6:7], v[74:75], s[2:3], -v[14:15]
	v_mul_f64 v[24:25], v[98:99], s[34:35]
	v_fma_f64 v[14:15], v[74:75], s[2:3], v[14:15]
	v_add_f64 v[12:13], v[20:21], v[12:13]
	s_delay_alu instid0(VALU_DEP_4) | instskip(NEXT) | instid1(VALU_DEP_4)
	v_add_f64 v[6:7], v[6:7], v[56:57]
	v_fma_f64 v[26:27], v[78:79], s[22:23], -v[24:25]
	s_delay_alu instid0(VALU_DEP_4) | instskip(SKIP_2) | instid1(VALU_DEP_4)
	v_add_f64 v[14:15], v[14:15], v[42:43]
	v_fma_f64 v[20:21], v[78:79], s[22:23], v[24:25]
	v_mul_f64 v[24:25], v[100:101], s[0:1]
	v_add_f64 v[6:7], v[26:27], v[6:7]
	v_mul_f64 v[26:27], v[116:117], s[42:43]
	s_delay_alu instid0(VALU_DEP_4) | instskip(NEXT) | instid1(VALU_DEP_2)
	v_add_f64 v[14:15], v[20:21], v[14:15]
	v_fma_f64 v[36:37], v[80:81], s[10:11], v[26:27]
	v_fma_f64 v[20:21], v[80:81], s[10:11], -v[26:27]
	v_mul_f64 v[26:27], v[94:95], s[0:1]
	s_delay_alu instid0(VALU_DEP_3) | instskip(SKIP_1) | instid1(VALU_DEP_4)
	v_add_f64 v[4:5], v[36:37], v[4:5]
	v_mul_f64 v[36:37], v[110:111], s[42:43]
	v_add_f64 v[12:13], v[20:21], v[12:13]
	s_delay_alu instid0(VALU_DEP_2) | instskip(SKIP_2) | instid1(VALU_DEP_3)
	v_fma_f64 v[38:39], v[82:83], s[10:11], -v[36:37]
	v_fma_f64 v[20:21], v[82:83], s[10:11], v[36:37]
	v_mul_f64 v[36:37], v[114:115], s[30:31]
	v_add_f64 v[6:7], v[38:39], v[6:7]
	v_mul_f64 v[38:39], v[122:123], s[28:29]
	s_delay_alu instid0(VALU_DEP_4) | instskip(NEXT) | instid1(VALU_DEP_2)
	v_add_f64 v[14:15], v[20:21], v[14:15]
	v_fma_f64 v[40:41], v[88:89], s[20:21], v[38:39]
	v_fma_f64 v[20:21], v[88:89], s[20:21], -v[38:39]
	v_fma_f64 v[38:39], v[76:77], s[12:13], v[36:37]
	v_fma_f64 v[36:37], v[76:77], s[12:13], -v[36:37]
	s_delay_alu instid0(VALU_DEP_4) | instskip(SKIP_2) | instid1(VALU_DEP_2)
	v_add_f64 v[4:5], v[40:41], v[4:5]
	v_mul_f64 v[40:41], v[112:113], s[28:29]
	v_add_f64 v[12:13], v[20:21], v[12:13]
	v_fma_f64 v[54:55], v[90:91], s[20:21], -v[40:41]
	v_fma_f64 v[20:21], v[90:91], s[20:21], v[40:41]
	s_delay_alu instid0(VALU_DEP_2) | instskip(SKIP_1) | instid1(VALU_DEP_3)
	v_add_f64 v[6:7], v[54:55], v[6:7]
	v_mul_f64 v[54:55], v[124:125], s[0:1]
	v_add_f64 v[14:15], v[20:21], v[14:15]
	s_delay_alu instid0(VALU_DEP_2) | instskip(SKIP_1) | instid1(VALU_DEP_2)
	v_fma_f64 v[56:57], v[92:93], s[6:7], v[54:55]
	v_fma_f64 v[20:21], v[92:93], s[6:7], -v[54:55]
	v_add_f64 v[4:5], v[56:57], v[4:5]
	v_mul_f64 v[56:57], v[118:119], s[0:1]
	s_delay_alu instid0(VALU_DEP_3) | instskip(NEXT) | instid1(VALU_DEP_2)
	v_add_f64 v[12:13], v[20:21], v[12:13]
	v_fma_f64 v[68:69], v[96:97], s[6:7], -v[56:57]
	v_fma_f64 v[20:21], v[96:97], s[6:7], v[56:57]
	s_delay_alu instid0(VALU_DEP_2) | instskip(SKIP_1) | instid1(VALU_DEP_3)
	v_add_f64 v[6:7], v[68:69], v[6:7]
	v_mul_f64 v[68:69], v[128:129], s[38:39]
	v_add_f64 v[14:15], v[20:21], v[14:15]
	s_delay_alu instid0(VALU_DEP_2) | instskip(SKIP_1) | instid1(VALU_DEP_2)
	v_fma_f64 v[70:71], v[102:103], s[14:15], v[68:69]
	v_fma_f64 v[20:21], v[102:103], s[14:15], -v[68:69]
	v_add_f64 v[4:5], v[70:71], v[4:5]
	v_mul_f64 v[70:71], v[120:121], s[38:39]
	s_delay_alu instid0(VALU_DEP_3) | instskip(NEXT) | instid1(VALU_DEP_2)
	v_add_f64 v[12:13], v[20:21], v[12:13]
	v_fma_f64 v[20:21], v[104:105], s[14:15], v[70:71]
	v_fma_f64 v[181:182], v[104:105], s[14:15], -v[70:71]
	s_delay_alu instid0(VALU_DEP_2) | instskip(SKIP_1) | instid1(VALU_DEP_3)
	v_add_f64 v[20:21], v[20:21], v[14:15]
	v_fma_f64 v[14:15], v[106:107], s[12:13], -v[183:184]
	v_add_f64 v[181:182], v[181:182], v[6:7]
	v_fma_f64 v[6:7], v[106:107], s[12:13], v[183:184]
	v_mul_f64 v[183:184], v[130:131], s[38:39]
	s_delay_alu instid0(VALU_DEP_4)
	v_add_f64 v[14:15], v[14:15], v[12:13]
	v_add_f64 v[12:13], v[22:23], v[20:21]
	v_fma_f64 v[20:21], v[72:73], s[6:7], v[24:25]
	v_fma_f64 v[22:23], v[74:75], s[6:7], -v[26:27]
	v_fma_f64 v[24:25], v[72:73], s[6:7], -v[24:25]
	v_fma_f64 v[26:27], v[74:75], s[6:7], v[26:27]
	v_add_f64 v[6:7], v[6:7], v[4:5]
	v_fma_f64 v[4:5], v[108:109], s[12:13], -v[185:186]
	v_mul_f64 v[185:186], v[126:127], s[38:39]
	v_add_f64 v[20:21], v[20:21], v[152:153]
	v_add_f64 v[22:23], v[22:23], v[58:59]
	;; [unrolled: 1-line block ×4, first 2 shown]
	v_mul_f64 v[44:45], v[78:79], s[6:7]
	v_add_f64 v[4:5], v[4:5], v[181:182]
	v_mul_f64 v[154:155], v[126:127], s[44:45]
	v_mul_f64 v[126:127], v[126:127], s[0:1]
	v_add_f64 v[20:21], v[38:39], v[20:21]
	v_mul_f64 v[38:39], v[98:99], s[30:31]
	v_add_f64 v[24:25], v[36:37], v[24:25]
	v_add_f64 v[44:45], v[44:45], v[136:137]
	v_mul_f64 v[136:137], v[116:117], s[36:37]
	s_delay_alu instid0(VALU_DEP_4) | instskip(SKIP_2) | instid1(VALU_DEP_3)
	v_fma_f64 v[40:41], v[78:79], s[12:13], -v[38:39]
	v_fma_f64 v[36:37], v[78:79], s[12:13], v[38:39]
	v_fma_f64 v[38:39], v[108:109], s[14:15], v[185:186]
	v_add_f64 v[22:23], v[40:41], v[22:23]
	v_mul_f64 v[40:41], v[116:117], s[46:47]
	s_delay_alu instid0(VALU_DEP_4) | instskip(NEXT) | instid1(VALU_DEP_2)
	v_add_f64 v[26:27], v[36:37], v[26:27]
	v_fma_f64 v[42:43], v[80:81], s[20:21], v[40:41]
	v_fma_f64 v[36:37], v[80:81], s[20:21], -v[40:41]
	v_mul_f64 v[40:41], v[100:101], s[16:17]
	s_delay_alu instid0(VALU_DEP_3) | instskip(SKIP_1) | instid1(VALU_DEP_4)
	v_add_f64 v[20:21], v[42:43], v[20:21]
	v_mul_f64 v[42:43], v[110:111], s[46:47]
	v_add_f64 v[24:25], v[36:37], v[24:25]
	s_delay_alu instid0(VALU_DEP_4) | instskip(SKIP_1) | instid1(VALU_DEP_4)
	v_add_f64 v[40:41], v[134:135], -v[40:41]
	v_mul_f64 v[134:135], v[98:99], s[28:29]
	v_fma_f64 v[54:55], v[82:83], s[20:21], -v[42:43]
	v_fma_f64 v[36:37], v[82:83], s[20:21], v[42:43]
	v_mul_f64 v[42:43], v[82:83], s[12:13]
	v_add_f64 v[28:29], v[40:41], v[28:29]
	v_mul_f64 v[40:41], v[96:97], s[20:21]
	v_add_f64 v[22:23], v[54:55], v[22:23]
	;; [unrolled: 2-line block ×3, first 2 shown]
	v_add_f64 v[42:43], v[42:43], v[140:141]
	v_add_f64 v[40:41], v[40:41], v[148:149]
	v_mul_f64 v[140:141], v[122:123], s[48:49]
	v_mul_f64 v[148:149], v[128:129], s[0:1]
	v_fma_f64 v[56:57], v[88:89], s[2:3], v[54:55]
	v_fma_f64 v[36:37], v[88:89], s[2:3], -v[54:55]
	v_mul_f64 v[54:55], v[74:75], s[10:11]
	s_delay_alu instid0(VALU_DEP_3) | instskip(SKIP_1) | instid1(VALU_DEP_4)
	v_add_f64 v[20:21], v[56:57], v[20:21]
	v_mul_f64 v[56:57], v[112:113], s[18:19]
	v_add_f64 v[24:25], v[36:37], v[24:25]
	s_delay_alu instid0(VALU_DEP_4) | instskip(SKIP_1) | instid1(VALU_DEP_4)
	v_add_f64 v[54:55], v[54:55], v[132:133]
	v_mul_f64 v[132:133], v[114:115], s[28:29]
	v_fma_f64 v[58:59], v[90:91], s[2:3], -v[56:57]
	v_fma_f64 v[36:37], v[90:91], s[2:3], v[56:57]
	s_delay_alu instid0(VALU_DEP_4) | instskip(SKIP_2) | instid1(SALU_CYCLE_1)
	v_add_f64 v[30:31], v[54:55], v[30:31]
	v_mul_f64 v[56:57], v[122:123], s[38:39]
	s_mov_b32 s39, 0x3feec746
	v_mul_f64 v[201:202], v[114:115], s[38:39]
	v_mul_f64 v[203:204], v[98:99], s[38:39]
	;; [unrolled: 1-line block ×3, first 2 shown]
	v_add_f64 v[22:23], v[58:59], v[22:23]
	v_mul_f64 v[58:59], v[124:125], s[36:37]
	v_add_f64 v[26:27], v[36:37], v[26:27]
	v_add_f64 v[30:31], v[44:45], v[30:31]
	v_add_f64 v[56:57], v[146:147], -v[56:57]
	v_mul_f64 v[146:147], v[118:119], s[38:39]
	v_fma_f64 v[44:45], v[76:77], s[14:15], -v[201:202]
	v_fma_f64 v[68:69], v[92:93], s[26:27], v[58:59]
	v_fma_f64 v[36:37], v[92:93], s[26:27], -v[58:59]
	v_mul_f64 v[58:59], v[90:91], s[14:15]
	v_add_f64 v[30:31], v[42:43], v[30:31]
	v_mul_f64 v[42:43], v[130:131], s[36:37]
	v_add_f64 v[20:21], v[68:69], v[20:21]
	;; [unrolled: 2-line block ×3, first 2 shown]
	v_add_f64 v[58:59], v[58:59], v[144:145]
	v_add_f64 v[42:43], v[166:167], -v[42:43]
	v_mul_f64 v[144:145], v[124:125], s[38:39]
	v_mul_f64 v[166:167], v[98:99], s[50:51]
	;; [unrolled: 1-line block ×4, first 2 shown]
	v_fma_f64 v[70:71], v[96:97], s[26:27], -v[68:69]
	v_fma_f64 v[36:37], v[96:97], s[26:27], v[68:69]
	v_mul_f64 v[68:69], v[124:125], s[28:29]
	v_add_f64 v[30:31], v[58:59], v[30:31]
	v_mul_f64 v[58:59], v[94:95], s[48:49]
	v_add_f64 v[22:23], v[70:71], v[22:23]
	;; [unrolled: 2-line block ×3, first 2 shown]
	v_add_f64 v[68:69], v[150:151], -v[68:69]
	v_add_f64 v[30:31], v[40:41], v[30:31]
	v_mul_f64 v[40:41], v[108:109], s[26:27]
	v_mul_f64 v[150:151], v[120:121], s[0:1]
	v_fma_f64 v[152:153], v[102:103], s[10:11], v[70:71]
	v_fma_f64 v[36:37], v[102:103], s[10:11], -v[70:71]
	v_mul_f64 v[70:71], v[94:95], s[30:31]
	v_add_f64 v[40:41], v[40:41], v[160:161]
	v_mul_f64 v[160:161], v[94:95], s[28:29]
	v_add_f64 v[20:21], v[152:153], v[20:21]
	;; [unrolled: 2-line block ×3, first 2 shown]
	v_mul_f64 v[120:121], v[120:121], s[36:37]
	s_delay_alu instid0(VALU_DEP_3) | instskip(SKIP_2) | instid1(VALU_DEP_3)
	v_fma_f64 v[36:37], v[104:105], s[10:11], v[152:153]
	v_fma_f64 v[181:182], v[104:105], s[10:11], -v[152:153]
	v_mul_f64 v[152:153], v[130:131], s[44:45]
	v_add_f64 v[36:37], v[36:37], v[26:27]
	v_fma_f64 v[26:27], v[106:107], s[14:15], -v[183:184]
	s_delay_alu instid0(VALU_DEP_4) | instskip(SKIP_2) | instid1(VALU_DEP_4)
	v_add_f64 v[181:182], v[181:182], v[22:23]
	v_fma_f64 v[22:23], v[106:107], s[14:15], v[183:184]
	v_mul_f64 v[183:184], v[122:123], s[42:43]
	v_add_f64 v[26:27], v[26:27], v[24:25]
	v_add_f64 v[24:25], v[38:39], v[36:37]
	v_mul_f64 v[38:39], v[114:115], s[24:25]
	v_mul_f64 v[36:37], v[116:117], s[30:31]
	v_add_f64 v[22:23], v[22:23], v[20:21]
	v_fma_f64 v[20:21], v[108:109], s[14:15], -v[185:186]
	v_mul_f64 v[185:186], v[112:113], s[42:43]
	v_add_f64 v[38:39], v[138:139], -v[38:39]
	v_add_f64 v[36:37], v[142:143], -v[36:37]
	v_mul_f64 v[138:139], v[110:111], s[36:37]
	v_mul_f64 v[142:143], v[112:113], s[48:49]
	v_add_f64 v[20:21], v[20:21], v[181:182]
	v_mul_f64 v[181:182], v[110:111], s[38:39]
	v_mul_f64 v[110:111], v[110:111], s[34:35]
	;; [unrolled: 1-line block ×3, first 2 shown]
	v_add_f64 v[28:29], v[38:39], v[28:29]
	v_mul_f64 v[38:39], v[128:129], s[34:35]
	s_delay_alu instid0(VALU_DEP_2) | instskip(SKIP_1) | instid1(VALU_DEP_3)
	v_add_f64 v[28:29], v[36:37], v[28:29]
	v_mul_f64 v[36:37], v[104:105], s[22:23]
	v_add_f64 v[38:39], v[162:163], -v[38:39]
	v_mul_f64 v[162:163], v[114:115], s[50:51]
	s_delay_alu instid0(VALU_DEP_4) | instskip(NEXT) | instid1(VALU_DEP_4)
	v_add_f64 v[28:29], v[56:57], v[28:29]
	v_add_f64 v[36:37], v[36:37], v[158:159]
	v_mul_f64 v[158:159], v[100:101], s[28:29]
	v_mul_f64 v[56:57], v[100:101], s[48:49]
	s_delay_alu instid0(VALU_DEP_4) | instskip(NEXT) | instid1(VALU_DEP_4)
	v_add_f64 v[28:29], v[68:69], v[28:29]
	v_add_f64 v[36:37], v[36:37], v[30:31]
	v_mul_f64 v[68:69], v[100:101], s[30:31]
	s_delay_alu instid0(VALU_DEP_3) | instskip(SKIP_1) | instid1(VALU_DEP_2)
	v_add_f64 v[28:29], v[38:39], v[28:29]
	v_fma_f64 v[38:39], v[74:75], s[20:21], v[160:161]
	v_add_f64 v[30:31], v[42:43], v[28:29]
	v_add_f64 v[28:29], v[40:41], v[36:37]
	v_fma_f64 v[36:37], v[72:73], s[12:13], -v[68:69]
	v_fma_f64 v[40:41], v[76:77], s[26:27], -v[162:163]
	v_add_f64 v[38:39], v[38:39], v[52:53]
	v_mul_f64 v[52:53], v[100:101], s[38:39]
	v_fma_f64 v[68:69], v[72:73], s[12:13], v[68:69]
	v_add_f64 v[32:33], v[36:37], v[32:33]
	v_fma_f64 v[36:37], v[74:75], s[12:13], v[70:71]
	v_fma_f64 v[70:71], v[74:75], s[12:13], -v[70:71]
	s_delay_alu instid0(VALU_DEP_4) | instskip(SKIP_1) | instid1(VALU_DEP_4)
	v_add_f64 v[18:19], v[68:69], v[18:19]
	v_fma_f64 v[68:69], v[78:79], s[20:21], -v[134:135]
	v_add_f64 v[34:35], v[36:37], v[34:35]
	v_fma_f64 v[36:37], v[76:77], s[20:21], -v[132:133]
	v_add_f64 v[16:17], v[70:71], v[16:17]
	v_fma_f64 v[70:71], v[80:81], s[26:27], v[136:137]
	s_delay_alu instid0(VALU_DEP_3) | instskip(SKIP_1) | instid1(VALU_DEP_4)
	v_add_f64 v[32:33], v[36:37], v[32:33]
	v_fma_f64 v[36:37], v[78:79], s[20:21], v[134:135]
	v_add_f64 v[16:17], v[68:69], v[16:17]
	v_fma_f64 v[68:69], v[88:89], s[22:23], v[140:141]
	s_delay_alu instid0(VALU_DEP_3) | instskip(SKIP_1) | instid1(VALU_DEP_1)
	v_add_f64 v[34:35], v[36:37], v[34:35]
	v_fma_f64 v[36:37], v[80:81], s[26:27], -v[136:137]
	v_add_f64 v[32:33], v[36:37], v[32:33]
	v_fma_f64 v[36:37], v[82:83], s[26:27], v[138:139]
	s_delay_alu instid0(VALU_DEP_1) | instskip(SKIP_1) | instid1(VALU_DEP_1)
	v_add_f64 v[34:35], v[36:37], v[34:35]
	v_fma_f64 v[36:37], v[88:89], s[22:23], -v[140:141]
	v_add_f64 v[32:33], v[36:37], v[32:33]
	v_fma_f64 v[36:37], v[90:91], s[22:23], v[142:143]
	s_delay_alu instid0(VALU_DEP_1) | instskip(SKIP_1) | instid1(VALU_DEP_1)
	;; [unrolled: 5-line block ×5, first 2 shown]
	v_add_f64 v[32:33], v[32:33], v[36:37]
	v_fma_f64 v[36:37], v[72:73], s[20:21], -v[158:159]
	v_add_f64 v[36:37], v[36:37], v[179:180]
	v_mul_f64 v[179:180], v[116:117], s[38:39]
	s_delay_alu instid0(VALU_DEP_2) | instskip(SKIP_1) | instid1(VALU_DEP_1)
	v_add_f64 v[36:37], v[40:41], v[36:37]
	v_fma_f64 v[40:41], v[78:79], s[26:27], v[166:167]
	v_add_f64 v[38:39], v[40:41], v[38:39]
	s_delay_alu instid0(VALU_DEP_4) | instskip(NEXT) | instid1(VALU_DEP_1)
	v_fma_f64 v[40:41], v[80:81], s[14:15], -v[179:180]
	v_add_f64 v[36:37], v[40:41], v[36:37]
	v_fma_f64 v[40:41], v[82:83], s[14:15], v[181:182]
	s_delay_alu instid0(VALU_DEP_1) | instskip(SKIP_1) | instid1(VALU_DEP_1)
	v_add_f64 v[38:39], v[40:41], v[38:39]
	v_fma_f64 v[40:41], v[88:89], s[10:11], -v[183:184]
	v_add_f64 v[36:37], v[40:41], v[36:37]
	v_fma_f64 v[40:41], v[90:91], s[10:11], v[185:186]
	s_delay_alu instid0(VALU_DEP_1) | instskip(SKIP_1) | instid1(VALU_DEP_1)
	v_add_f64 v[38:39], v[40:41], v[38:39]
	;; [unrolled: 5-line block ×5, first 2 shown]
	v_fma_f64 v[40:41], v[72:73], s[26:27], -v[199:200]
	v_add_f64 v[40:41], v[40:41], v[175:176]
	v_mul_f64 v[175:176], v[94:95], s[36:37]
	v_mul_f64 v[94:95], v[114:115], s[18:19]
	s_delay_alu instid0(VALU_DEP_3) | instskip(NEXT) | instid1(VALU_DEP_3)
	v_add_f64 v[40:41], v[44:45], v[40:41]
	v_fma_f64 v[42:43], v[74:75], s[26:27], v[175:176]
	v_fma_f64 v[44:45], v[78:79], s[14:15], v[203:204]
	s_delay_alu instid0(VALU_DEP_4) | instskip(NEXT) | instid1(VALU_DEP_3)
	v_fma_f64 v[100:101], v[76:77], s[2:3], -v[94:95]
	v_add_f64 v[42:43], v[42:43], v[50:51]
	v_fma_f64 v[50:51], v[74:75], s[14:15], v[54:55]
	v_fma_f64 v[54:55], v[74:75], s[14:15], -v[54:55]
	s_delay_alu instid0(VALU_DEP_3) | instskip(SKIP_1) | instid1(VALU_DEP_4)
	v_add_f64 v[42:43], v[44:45], v[42:43]
	v_fma_f64 v[44:45], v[80:81], s[2:3], -v[205:206]
	v_add_f64 v[50:51], v[50:51], v[168:169]
	s_delay_alu instid0(VALU_DEP_4) | instskip(SKIP_4) | instid1(VALU_DEP_1)
	v_add_f64 v[54:55], v[54:55], v[60:61]
	v_fma_f64 v[60:61], v[76:77], s[2:3], v[94:95]
	v_fma_f64 v[94:95], v[108:109], s[6:7], -v[126:127]
	v_add_f64 v[40:41], v[44:45], v[40:41]
	v_fma_f64 v[44:45], v[82:83], s[2:3], v[207:208]
	v_add_f64 v[42:43], v[44:45], v[42:43]
	v_fma_f64 v[44:45], v[88:89], s[6:7], -v[209:210]
	s_delay_alu instid0(VALU_DEP_1) | instskip(SKIP_1) | instid1(VALU_DEP_1)
	v_add_f64 v[40:41], v[44:45], v[40:41]
	v_fma_f64 v[44:45], v[90:91], s[6:7], v[211:212]
	v_add_f64 v[42:43], v[44:45], v[42:43]
	v_fma_f64 v[44:45], v[92:93], s[22:23], -v[213:214]
	s_delay_alu instid0(VALU_DEP_1) | instskip(SKIP_1) | instid1(VALU_DEP_1)
	;; [unrolled: 5-line block ×4, first 2 shown]
	v_add_f64 v[42:43], v[42:43], v[40:41]
	v_fma_f64 v[40:41], v[108:109], s[10:11], v[223:224]
	v_add_f64 v[40:41], v[40:41], v[44:45]
	v_fma_f64 v[44:45], v[72:73], s[22:23], -v[56:57]
	v_fma_f64 v[56:57], v[72:73], s[22:23], v[56:57]
	s_delay_alu instid0(VALU_DEP_2) | instskip(SKIP_1) | instid1(VALU_DEP_3)
	v_add_f64 v[44:45], v[44:45], v[46:47]
	v_fma_f64 v[46:47], v[74:75], s[22:23], v[58:59]
	v_add_f64 v[56:57], v[56:57], v[170:171]
	v_fma_f64 v[58:59], v[74:75], s[22:23], -v[58:59]
	s_delay_alu instid0(VALU_DEP_3) | instskip(SKIP_1) | instid1(VALU_DEP_3)
	v_add_f64 v[46:47], v[46:47], v[48:49]
	v_fma_f64 v[48:49], v[76:77], s[10:11], -v[225:226]
	v_add_f64 v[58:59], v[58:59], v[62:63]
	v_fma_f64 v[62:63], v[108:109], s[20:21], -v[247:248]
	s_delay_alu instid0(VALU_DEP_3) | instskip(SKIP_1) | instid1(VALU_DEP_1)
	v_add_f64 v[44:45], v[48:49], v[44:45]
	v_fma_f64 v[48:49], v[78:79], s[10:11], v[227:228]
	v_add_f64 v[46:47], v[48:49], v[46:47]
	v_fma_f64 v[48:49], v[80:81], s[6:7], -v[229:230]
	s_delay_alu instid0(VALU_DEP_1) | instskip(SKIP_1) | instid1(VALU_DEP_1)
	v_add_f64 v[44:45], v[48:49], v[44:45]
	v_fma_f64 v[48:49], v[82:83], s[6:7], v[231:232]
	v_add_f64 v[46:47], v[48:49], v[46:47]
	v_fma_f64 v[48:49], v[88:89], s[26:27], -v[233:234]
	s_delay_alu instid0(VALU_DEP_1) | instskip(SKIP_1) | instid1(VALU_DEP_1)
	;; [unrolled: 5-line block ×5, first 2 shown]
	v_add_f64 v[46:47], v[46:47], v[44:45]
	v_fma_f64 v[44:45], v[108:109], s[20:21], v[247:248]
	v_add_f64 v[44:45], v[44:45], v[48:49]
	v_fma_f64 v[48:49], v[72:73], s[14:15], -v[52:53]
	v_fma_f64 v[52:53], v[72:73], s[14:15], v[52:53]
	s_delay_alu instid0(VALU_DEP_2) | instskip(NEXT) | instid1(VALU_DEP_2)
	v_add_f64 v[48:49], v[48:49], v[164:165]
	v_add_f64 v[52:53], v[52:53], v[156:157]
	s_delay_alu instid0(VALU_DEP_2) | instskip(SKIP_1) | instid1(VALU_DEP_3)
	v_add_f64 v[48:49], v[100:101], v[48:49]
	v_fma_f64 v[100:101], v[78:79], s[2:3], v[98:99]
	v_add_f64 v[52:53], v[60:61], v[52:53]
	v_fma_f64 v[60:61], v[78:79], s[2:3], -v[98:99]
	v_fma_f64 v[98:99], v[108:109], s[22:23], -v[197:198]
	s_delay_alu instid0(VALU_DEP_4) | instskip(SKIP_1) | instid1(VALU_DEP_4)
	v_add_f64 v[50:51], v[100:101], v[50:51]
	v_mul_f64 v[100:101], v[116:117], s[34:35]
	v_add_f64 v[54:55], v[60:61], v[54:55]
	s_delay_alu instid0(VALU_DEP_2) | instskip(SKIP_1) | instid1(VALU_DEP_2)
	v_fma_f64 v[114:115], v[80:81], s[22:23], -v[100:101]
	v_fma_f64 v[60:61], v[80:81], s[22:23], v[100:101]
	v_add_f64 v[48:49], v[114:115], v[48:49]
	v_fma_f64 v[114:115], v[82:83], s[22:23], v[110:111]
	s_delay_alu instid0(VALU_DEP_3) | instskip(SKIP_1) | instid1(VALU_DEP_3)
	v_add_f64 v[52:53], v[60:61], v[52:53]
	v_fma_f64 v[60:61], v[82:83], s[22:23], -v[110:111]
	v_add_f64 v[50:51], v[114:115], v[50:51]
	v_mul_f64 v[114:115], v[122:123], s[40:41]
	s_delay_alu instid0(VALU_DEP_3) | instskip(NEXT) | instid1(VALU_DEP_2)
	v_add_f64 v[54:55], v[60:61], v[54:55]
	v_fma_f64 v[116:117], v[88:89], s[12:13], -v[114:115]
	v_fma_f64 v[60:61], v[88:89], s[12:13], v[114:115]
	s_delay_alu instid0(VALU_DEP_2) | instskip(SKIP_1) | instid1(VALU_DEP_3)
	v_add_f64 v[48:49], v[116:117], v[48:49]
	v_fma_f64 v[116:117], v[90:91], s[12:13], v[112:113]
	v_add_f64 v[52:53], v[60:61], v[52:53]
	v_fma_f64 v[60:61], v[90:91], s[12:13], -v[112:113]
	s_delay_alu instid0(VALU_DEP_3) | instskip(SKIP_1) | instid1(VALU_DEP_3)
	v_add_f64 v[50:51], v[116:117], v[50:51]
	v_mul_f64 v[116:117], v[124:125], s[16:17]
	v_add_f64 v[54:55], v[60:61], v[54:55]
	s_delay_alu instid0(VALU_DEP_2) | instskip(SKIP_1) | instid1(VALU_DEP_2)
	v_fma_f64 v[122:123], v[92:93], s[10:11], -v[116:117]
	v_fma_f64 v[60:61], v[92:93], s[10:11], v[116:117]
	v_add_f64 v[48:49], v[122:123], v[48:49]
	v_fma_f64 v[122:123], v[96:97], s[10:11], v[118:119]
	s_delay_alu instid0(VALU_DEP_3) | instskip(SKIP_1) | instid1(VALU_DEP_3)
	v_add_f64 v[52:53], v[60:61], v[52:53]
	v_fma_f64 v[60:61], v[96:97], s[10:11], -v[118:119]
	v_add_f64 v[50:51], v[122:123], v[50:51]
	v_mul_f64 v[122:123], v[128:129], s[36:37]
	s_delay_alu instid0(VALU_DEP_3) | instskip(SKIP_1) | instid1(VALU_DEP_3)
	v_add_f64 v[54:55], v[60:61], v[54:55]
	v_mul_f64 v[128:129], v[130:131], s[0:1]
	v_fma_f64 v[60:61], v[102:103], s[26:27], v[122:123]
	v_fma_f64 v[124:125], v[102:103], s[26:27], -v[122:123]
	s_delay_alu instid0(VALU_DEP_2) | instskip(SKIP_1) | instid1(VALU_DEP_3)
	v_add_f64 v[52:53], v[60:61], v[52:53]
	v_fma_f64 v[60:61], v[104:105], s[26:27], -v[120:121]
	v_add_f64 v[48:49], v[124:125], v[48:49]
	v_fma_f64 v[124:125], v[104:105], s[26:27], v[120:121]
	s_delay_alu instid0(VALU_DEP_3) | instskip(SKIP_1) | instid1(VALU_DEP_3)
	v_add_f64 v[60:61], v[60:61], v[54:55]
	v_fma_f64 v[54:55], v[106:107], s[6:7], v[128:129]
	v_add_f64 v[124:125], v[124:125], v[50:51]
	v_fma_f64 v[50:51], v[106:107], s[6:7], -v[128:129]
	s_delay_alu instid0(VALU_DEP_3)
	v_add_f64 v[54:55], v[54:55], v[52:53]
	v_add_f64 v[52:53], v[94:95], v[60:61]
	v_fma_f64 v[60:61], v[76:77], s[10:11], v[225:226]
	v_fma_f64 v[94:95], v[108:109], s[10:11], -v[223:224]
	v_add_f64 v[50:51], v[50:51], v[48:49]
	v_fma_f64 v[48:49], v[108:109], s[6:7], v[126:127]
	s_delay_alu instid0(VALU_DEP_4) | instskip(SKIP_1) | instid1(VALU_DEP_3)
	v_add_f64 v[56:57], v[60:61], v[56:57]
	v_fma_f64 v[60:61], v[78:79], s[10:11], -v[227:228]
	v_add_f64 v[48:49], v[48:49], v[124:125]
	s_delay_alu instid0(VALU_DEP_2) | instskip(SKIP_1) | instid1(VALU_DEP_1)
	v_add_f64 v[58:59], v[60:61], v[58:59]
	v_fma_f64 v[60:61], v[80:81], s[6:7], v[229:230]
	v_add_f64 v[56:57], v[60:61], v[56:57]
	v_fma_f64 v[60:61], v[82:83], s[6:7], -v[231:232]
	s_delay_alu instid0(VALU_DEP_1) | instskip(SKIP_1) | instid1(VALU_DEP_1)
	v_add_f64 v[58:59], v[60:61], v[58:59]
	v_fma_f64 v[60:61], v[88:89], s[26:27], v[233:234]
	v_add_f64 v[56:57], v[60:61], v[56:57]
	v_fma_f64 v[60:61], v[90:91], s[26:27], -v[235:236]
	s_delay_alu instid0(VALU_DEP_1) | instskip(SKIP_1) | instid1(VALU_DEP_1)
	;; [unrolled: 5-line block ×4, first 2 shown]
	v_add_f64 v[60:61], v[60:61], v[58:59]
	v_fma_f64 v[58:59], v[106:107], s[20:21], v[245:246]
	v_add_f64 v[58:59], v[58:59], v[56:57]
	s_delay_alu instid0(VALU_DEP_3) | instskip(SKIP_2) | instid1(VALU_DEP_2)
	v_add_f64 v[56:57], v[62:63], v[60:61]
	v_fma_f64 v[60:61], v[72:73], s[26:27], v[199:200]
	v_fma_f64 v[62:63], v[74:75], s[26:27], -v[175:176]
	v_add_f64 v[60:61], v[60:61], v[173:174]
	s_delay_alu instid0(VALU_DEP_2) | instskip(SKIP_1) | instid1(VALU_DEP_1)
	v_add_f64 v[62:63], v[62:63], v[64:65]
	v_fma_f64 v[64:65], v[76:77], s[14:15], v[201:202]
	v_add_f64 v[60:61], v[64:65], v[60:61]
	v_fma_f64 v[64:65], v[78:79], s[14:15], -v[203:204]
	s_delay_alu instid0(VALU_DEP_1) | instskip(SKIP_1) | instid1(VALU_DEP_1)
	v_add_f64 v[62:63], v[64:65], v[62:63]
	v_fma_f64 v[64:65], v[80:81], s[2:3], v[205:206]
	v_add_f64 v[60:61], v[64:65], v[60:61]
	v_fma_f64 v[64:65], v[82:83], s[2:3], -v[207:208]
	s_delay_alu instid0(VALU_DEP_1) | instskip(SKIP_1) | instid1(VALU_DEP_1)
	;; [unrolled: 5-line block ×5, first 2 shown]
	v_add_f64 v[64:65], v[64:65], v[62:63]
	v_fma_f64 v[62:63], v[106:107], s[10:11], v[221:222]
	v_add_f64 v[62:63], v[62:63], v[60:61]
	s_delay_alu instid0(VALU_DEP_3) | instskip(SKIP_3) | instid1(VALU_DEP_3)
	v_add_f64 v[60:61], v[94:95], v[64:65]
	v_fma_f64 v[64:65], v[72:73], s[20:21], v[158:159]
	v_fma_f64 v[94:95], v[74:75], s[20:21], -v[160:161]
	v_fma_f64 v[72:73], v[76:77], s[20:21], v[132:133]
	v_add_f64 v[64:65], v[64:65], v[177:178]
	s_delay_alu instid0(VALU_DEP_3) | instskip(SKIP_1) | instid1(VALU_DEP_4)
	v_add_f64 v[66:67], v[94:95], v[66:67]
	v_fma_f64 v[94:95], v[76:77], s[26:27], v[162:163]
	v_add_f64 v[18:19], v[72:73], v[18:19]
	v_fma_f64 v[72:73], v[82:83], s[26:27], -v[138:139]
	s_delay_alu instid0(VALU_DEP_3) | instskip(SKIP_1) | instid1(VALU_DEP_4)
	v_add_f64 v[64:65], v[94:95], v[64:65]
	v_fma_f64 v[94:95], v[78:79], s[26:27], -v[166:167]
	v_add_f64 v[18:19], v[70:71], v[18:19]
	v_fma_f64 v[70:71], v[90:91], s[22:23], -v[142:143]
	v_add_f64 v[16:17], v[72:73], v[16:17]
	v_fma_f64 v[72:73], v[92:93], s[14:15], v[144:145]
	v_add_f64 v[66:67], v[94:95], v[66:67]
	v_fma_f64 v[94:95], v[80:81], s[14:15], v[179:180]
	v_add_f64 v[18:19], v[68:69], v[18:19]
	v_fma_f64 v[68:69], v[96:97], s[14:15], -v[146:147]
	v_add_f64 v[16:17], v[70:71], v[16:17]
	v_fma_f64 v[70:71], v[102:103], s[6:7], v[148:149]
	v_add_f64 v[64:65], v[94:95], v[64:65]
	v_fma_f64 v[94:95], v[82:83], s[14:15], -v[181:182]
	v_add_f64 v[18:19], v[72:73], v[18:19]
	v_fma_f64 v[72:73], v[104:105], s[6:7], -v[150:151]
	v_add_f64 v[16:17], v[68:69], v[16:17]
	v_fma_f64 v[68:69], v[106:107], s[2:3], v[152:153]
	v_add_f64 v[66:67], v[94:95], v[66:67]
	v_fma_f64 v[94:95], v[88:89], s[10:11], v[183:184]
	v_add_f64 v[18:19], v[70:71], v[18:19]
	v_fma_f64 v[70:71], v[108:109], s[2:3], -v[154:155]
	v_add_f64 v[16:17], v[72:73], v[16:17]
	s_delay_alu instid0(VALU_DEP_4) | instskip(SKIP_2) | instid1(VALU_DEP_4)
	v_add_f64 v[64:65], v[94:95], v[64:65]
	v_fma_f64 v[94:95], v[90:91], s[10:11], -v[185:186]
	v_add_f64 v[18:19], v[68:69], v[18:19]
	v_add_f64 v[16:17], v[70:71], v[16:17]
	v_lshl_add_u32 v68, v84, 8, v172
	s_delay_alu instid0(VALU_DEP_4) | instskip(SKIP_1) | instid1(VALU_DEP_1)
	v_add_f64 v[66:67], v[94:95], v[66:67]
	v_fma_f64 v[94:95], v[92:93], s[2:3], v[187:188]
	v_add_f64 v[64:65], v[94:95], v[64:65]
	v_fma_f64 v[94:95], v[96:97], s[2:3], -v[189:190]
	s_delay_alu instid0(VALU_DEP_1) | instskip(SKIP_1) | instid1(VALU_DEP_1)
	v_add_f64 v[66:67], v[94:95], v[66:67]
	v_fma_f64 v[94:95], v[102:103], s[12:13], v[191:192]
	v_add_f64 v[64:65], v[94:95], v[64:65]
	v_fma_f64 v[94:95], v[104:105], s[12:13], -v[193:194]
	s_delay_alu instid0(VALU_DEP_1) | instskip(SKIP_1) | instid1(VALU_DEP_1)
	v_add_f64 v[94:95], v[94:95], v[66:67]
	v_fma_f64 v[66:67], v[106:107], s[22:23], v[195:196]
	v_add_f64 v[66:67], v[66:67], v[64:65]
	s_delay_alu instid0(VALU_DEP_3)
	v_add_f64 v[64:65], v[98:99], v[94:95]
	ds_store_b128 v68, v[8:11]
	ds_store_b128 v68, v[28:31] offset:16
	ds_store_b128 v68, v[32:35] offset:32
	;; [unrolled: 1-line block ×16, first 2 shown]
.LBB0_19:
	s_or_b32 exec_lo, exec_lo, s33
	v_add_nc_u16 v89, v84, 0x77
	v_add_nc_u32_e32 v85, 0xee, v84
	v_add_nc_u32_e32 v21, 0x165, v84
	v_and_b32_e32 v4, 0xff, v84
	v_add_nc_u32_e32 v22, 0x1dc, v84
	v_and_b32_e32 v90, 0xff, v89
	v_and_b32_e32 v5, 0xffff, v85
	v_add_nc_u32_e32 v23, 0x253, v84
	v_mul_lo_u16 v42, 0xf1, v4
	v_and_b32_e32 v6, 0xffff, v21
	v_mul_lo_u16 v38, 0xf1, v90
	v_add_nc_u32_e32 v20, 0x2ca, v84
	v_and_b32_e32 v7, 0xffff, v22
	v_add_nc_u32_e32 v24, 0x341, v84
	v_mul_u32_u24_e32 v88, 0xf0f1, v5
	v_lshrrev_b16 v43, 12, v42
	v_and_b32_e32 v12, 0xffff, v23
	v_mul_u32_u24_e32 v117, 0xf0f1, v6
	v_lshrrev_b16 v25, 12, v38
	v_and_b32_e32 v13, 0xffff, v20
	v_mul_u32_u24_e32 v118, 0xf0f1, v7
	v_lshrrev_b32_e32 v26, 20, v88
	v_and_b32_e32 v14, 0xffff, v24
	v_mul_lo_u16 v4, v43, 17
	v_lshrrev_b32_e32 v35, 20, v117
	v_mul_u32_u24_e32 v45, 0xf0f1, v12
	v_mul_lo_u16 v5, v25, 17
	v_lshrrev_b32_e32 v36, 20, v118
	v_mul_u32_u24_e32 v44, 0xf0f1, v13
	v_mul_lo_u16 v8, v26, 17
	v_mul_u32_u24_e32 v41, 0xf0f1, v14
	v_sub_nc_u16 v4, v84, v4
	v_mul_lo_u16 v12, v35, 17
	v_lshrrev_b32_e32 v37, 20, v45
	v_sub_nc_u16 v5, v89, v5
	v_mul_lo_u16 v13, v36, 17
	v_lshrrev_b32_e32 v39, 20, v44
	v_sub_nc_u16 v8, v85, v8
	v_lshrrev_b32_e32 v40, 20, v41
	v_and_b32_e32 v4, 0xff, v4
	v_sub_nc_u16 v12, v21, v12
	v_mul_lo_u16 v14, v37, 17
	v_and_b32_e32 v5, 0xff, v5
	v_sub_nc_u16 v13, v22, v13
	v_mul_lo_u16 v15, v39, 17
	v_and_b32_e32 v6, 0xffff, v8
	v_mul_lo_u16 v16, v40, 17
	v_lshlrev_b32_e32 v29, 4, v4
	v_and_b32_e32 v12, 0xffff, v12
	v_sub_nc_u16 v14, v23, v14
	v_lshlrev_b32_e32 v27, 4, v5
	v_and_b32_e32 v13, 0xffff, v13
	v_sub_nc_u16 v15, v20, v15
	v_lshlrev_b32_e32 v28, 4, v6
	v_sub_nc_u16 v16, v24, v16
	s_waitcnt lgkmcnt(0)
	s_barrier
	buffer_gl0_inv
	s_clause 0x1
	global_load_b128 v[4:7], v29, s[4:5]
	global_load_b128 v[8:11], v27, s[4:5]
	v_lshlrev_b32_e32 v30, 4, v12
	v_and_b32_e32 v17, 0xffff, v14
	v_lshlrev_b32_e32 v31, 4, v13
	v_and_b32_e32 v33, 0xffff, v15
	v_and_b32_e32 v34, 0xffff, v16
	global_load_b128 v[12:15], v28, s[4:5]
	v_lshlrev_b32_e32 v32, 4, v17
	global_load_b128 v[16:19], v30, s[4:5]
	v_lshlrev_b32_e32 v33, 4, v33
	;; [unrolled: 2-line block ×3, first 2 shown]
	s_clause 0x2
	global_load_b128 v[50:53], v32, s[4:5]
	global_load_b128 v[54:57], v33, s[4:5]
	;; [unrolled: 1-line block ×3, first 2 shown]
	ds_load_b128 v[62:65], v172 offset:15232
	ds_load_b128 v[66:69], v172 offset:17136
	ds_load_b128 v[70:73], v172 offset:19040
	ds_load_b128 v[74:77], v172 offset:20944
	ds_load_b128 v[78:81], v172 offset:22848
	ds_load_b128 v[91:94], v172 offset:24752
	ds_load_b128 v[95:98], v172 offset:26656
	ds_load_b128 v[99:102], v172 offset:28560
	v_and_b32_e32 v25, 0xffff, v25
	v_mul_u32_u24_e32 v26, 0x220, v26
	v_mul_u32_u24_e32 v39, 0x220, v39
	;; [unrolled: 1-line block ×3, first 2 shown]
	v_cmp_gt_u32_e64 s0, 34, v84
	v_mul_u32_u24_e32 v25, 0x220, v25
	v_add3_u32 v26, 0, v26, v28
	s_delay_alu instid0(VALU_DEP_2)
	v_add3_u32 v25, 0, v25, v27
	s_waitcnt vmcnt(7) lgkmcnt(7)
	v_mul_f64 v[82:83], v[64:65], v[6:7]
	v_mul_f64 v[6:7], v[62:63], v[6:7]
	s_waitcnt vmcnt(6) lgkmcnt(6)
	v_mul_f64 v[103:104], v[68:69], v[10:11]
	v_mul_f64 v[10:11], v[66:67], v[10:11]
	;; [unrolled: 3-line block ×8, first 2 shown]
	v_fma_f64 v[62:63], v[62:63], v[4:5], v[82:83]
	v_fma_f64 v[64:65], v[64:65], v[4:5], -v[6:7]
	v_fma_f64 v[66:67], v[66:67], v[8:9], v[103:104]
	v_fma_f64 v[68:69], v[68:69], v[8:9], -v[10:11]
	v_lshrrev_b16 v103, 13, v42
	v_and_b32_e32 v42, 0xffff, v43
	v_lshrrev_b16 v104, 13, v38
	v_fma_f64 v[70:71], v[70:71], v[12:13], v[105:106]
	v_fma_f64 v[72:73], v[72:73], v[12:13], -v[14:15]
	v_fma_f64 v[74:75], v[74:75], v[16:17], v[107:108]
	v_fma_f64 v[76:77], v[76:77], v[16:17], -v[18:19]
	v_fma_f64 v[78:79], v[78:79], v[46:47], v[109:110]
	v_fma_f64 v[80:81], v[80:81], v[46:47], -v[48:49]
	v_fma_f64 v[82:83], v[91:92], v[50:51], v[111:112]
	v_fma_f64 v[91:92], v[93:94], v[50:51], -v[52:53]
	v_fma_f64 v[93:94], v[95:96], v[54:55], v[113:114]
	v_fma_f64 v[95:96], v[97:98], v[54:55], -v[56:57]
	v_fma_f64 v[97:98], v[99:100], v[58:59], v[115:116]
	v_fma_f64 v[99:100], v[101:102], v[58:59], -v[60:61]
	ds_load_b128 v[16:19], v172
	ds_load_b128 v[12:15], v172 offset:1904
	ds_load_b128 v[8:11], v172 offset:3808
	;; [unrolled: 1-line block ×7, first 2 shown]
	v_lshrrev_b32_e32 v109, 21, v44
	v_lshrrev_b32_e32 v110, 21, v41
	v_mul_u32_u24_e32 v102, 0x220, v42
	v_mul_lo_u16 v101, v103, 34
	v_lshrrev_b32_e32 v105, 21, v88
	v_lshrrev_b32_e32 v106, 21, v117
	;; [unrolled: 1-line block ×4, first 2 shown]
	v_mul_lo_u16 v111, v110, 34
	v_add3_u32 v29, 0, v102, v29
	v_mul_lo_u16 v38, v106, 34
	v_mul_lo_u16 v45, v107, 34
	s_waitcnt lgkmcnt(0)
	v_sub_nc_u16 v24, v24, v111
	s_barrier
	v_sub_nc_u16 v21, v21, v38
	v_sub_nc_u16 v22, v22, v45
	v_add_f64 v[41:42], v[16:17], -v[62:63]
	v_add_f64 v[43:44], v[18:19], -v[64:65]
	;; [unrolled: 1-line block ×4, first 2 shown]
	v_and_b32_e32 v21, 0xffff, v21
	v_and_b32_e32 v22, 0xffff, v22
	buffer_gl0_inv
	v_add_f64 v[66:67], v[8:9], -v[70:71]
	v_add_f64 v[68:69], v[10:11], -v[72:73]
	;; [unrolled: 1-line block ×12, first 2 shown]
	v_mul_u32_u24_e32 v82, 0x220, v35
	v_mul_u32_u24_e32 v83, 0x220, v36
	;; [unrolled: 1-line block ×3, first 2 shown]
	v_sub_nc_u16 v35, v84, v101
	v_mul_lo_u16 v36, v104, 34
	v_mul_lo_u16 v37, v105, 34
	;; [unrolled: 1-line block ×4, first 2 shown]
	v_and_b32_e32 v112, 0xff, v35
	v_sub_nc_u16 v113, v89, v36
	v_sub_nc_u16 v114, v85, v37
	;; [unrolled: 1-line block ×4, first 2 shown]
	v_lshlrev_b32_e32 v111, 4, v112
	v_add3_u32 v27, 0, v82, v30
	v_add3_u32 v28, 0, v83, v31
	;; [unrolled: 1-line block ×5, first 2 shown]
	v_fma_f64 v[16:17], v[16:17], 2.0, -v[41:42]
	v_fma_f64 v[18:19], v[18:19], 2.0, -v[43:44]
	;; [unrolled: 1-line block ×4, first 2 shown]
	v_and_b32_e32 v23, 0xffff, v23
	v_and_b32_e32 v20, 0xffff, v20
	v_lshlrev_b32_e32 v115, 4, v22
	v_fma_f64 v[8:9], v[8:9], 2.0, -v[66:67]
	v_fma_f64 v[10:11], v[10:11], 2.0, -v[68:69]
	;; [unrolled: 1-line block ×12, first 2 shown]
	v_and_b32_e32 v57, 0xff, v113
	v_and_b32_e32 v58, 0xffff, v114
	ds_store_b128 v29, v[16:19]
	ds_store_b128 v29, v[41:44] offset:272
	ds_store_b128 v25, v[12:15]
	ds_store_b128 v25, v[62:65] offset:272
	;; [unrolled: 2-line block ×8, first 2 shown]
	v_lshlrev_b32_e32 v112, 4, v57
	v_lshlrev_b32_e32 v113, 4, v58
	s_waitcnt lgkmcnt(0)
	s_barrier
	buffer_gl0_inv
	s_clause 0x1
	global_load_b128 v[4:7], v111, s[4:5] offset:272
	global_load_b128 v[8:11], v112, s[4:5] offset:272
	v_lshlrev_b32_e32 v114, 4, v21
	v_and_b32_e32 v24, 0xffff, v24
	global_load_b128 v[12:15], v113, s[4:5] offset:272
	v_lshlrev_b32_e32 v116, 4, v23
	v_lshlrev_b32_e32 v117, 4, v20
	s_clause 0x1
	global_load_b128 v[16:19], v114, s[4:5] offset:272
	global_load_b128 v[20:23], v115, s[4:5] offset:272
	v_lshlrev_b32_e32 v118, 4, v24
	s_clause 0x2
	global_load_b128 v[24:27], v116, s[4:5] offset:272
	global_load_b128 v[28:31], v117, s[4:5] offset:272
	;; [unrolled: 1-line block ×3, first 2 shown]
	ds_load_b128 v[36:39], v172 offset:15232
	ds_load_b128 v[40:43], v172 offset:17136
	;; [unrolled: 1-line block ×8, first 2 shown]
	s_waitcnt vmcnt(7) lgkmcnt(7)
	v_mul_f64 v[68:69], v[38:39], v[6:7]
	v_mul_f64 v[6:7], v[36:37], v[6:7]
	s_waitcnt vmcnt(6) lgkmcnt(6)
	v_mul_f64 v[70:71], v[42:43], v[10:11]
	v_mul_f64 v[10:11], v[40:41], v[10:11]
	;; [unrolled: 3-line block ×8, first 2 shown]
	v_fma_f64 v[68:69], v[36:37], v[4:5], v[68:69]
	v_fma_f64 v[91:92], v[38:39], v[4:5], -v[6:7]
	v_fma_f64 v[70:71], v[40:41], v[8:9], v[70:71]
	v_fma_f64 v[8:9], v[42:43], v[8:9], -v[10:11]
	v_fma_f64 v[10:11], v[44:45], v[12:13], v[72:73]
	v_fma_f64 v[72:73], v[46:47], v[12:13], -v[14:15]
	v_fma_f64 v[74:75], v[48:49], v[16:17], v[74:75]
	v_fma_f64 v[93:94], v[50:51], v[16:17], -v[18:19]
	v_fma_f64 v[76:77], v[52:53], v[20:21], v[76:77]
	v_fma_f64 v[95:96], v[54:55], v[20:21], -v[22:23]
	v_fma_f64 v[78:79], v[56:57], v[24:25], v[78:79]
	v_fma_f64 v[97:98], v[58:59], v[24:25], -v[26:27]
	v_fma_f64 v[80:81], v[60:61], v[28:29], v[80:81]
	v_fma_f64 v[99:100], v[62:63], v[28:29], -v[30:31]
	v_fma_f64 v[82:83], v[64:65], v[32:33], v[82:83]
	v_fma_f64 v[101:102], v[66:67], v[32:33], -v[34:35]
	ds_load_b128 v[4:7], v172
	ds_load_b128 v[12:15], v172 offset:1904
	ds_load_b128 v[16:19], v172 offset:3808
	;; [unrolled: 1-line block ×7, first 2 shown]
	s_waitcnt lgkmcnt(0)
	s_barrier
	buffer_gl0_inv
	v_add_f64 v[40:41], v[4:5], -v[68:69]
	v_add_f64 v[42:43], v[6:7], -v[91:92]
	;; [unrolled: 1-line block ×6, first 2 shown]
	v_and_b32_e32 v72, 0xffff, v103
	v_add_f64 v[52:53], v[20:21], -v[74:75]
	v_add_f64 v[54:55], v[22:23], -v[93:94]
	v_add_f64 v[56:57], v[24:25], -v[76:77]
	v_add_f64 v[58:59], v[26:27], -v[95:96]
	v_add_f64 v[60:61], v[28:29], -v[78:79]
	v_add_f64 v[62:63], v[30:31], -v[97:98]
	v_add_f64 v[64:65], v[32:33], -v[80:81]
	v_add_f64 v[66:67], v[34:35], -v[99:100]
	v_add_f64 v[8:9], v[36:37], -v[82:83]
	v_add_f64 v[10:11], v[38:39], -v[101:102]
	v_mul_u32_u24_e32 v73, 0x440, v108
	v_mul_u32_u24_e32 v74, 0x440, v109
	;; [unrolled: 1-line block ×3, first 2 shown]
	s_delay_alu instid0(VALU_DEP_3) | instskip(NEXT) | instid1(VALU_DEP_3)
	v_add3_u32 v73, 0, v73, v116
	v_add3_u32 v74, 0, v74, v117
	s_delay_alu instid0(VALU_DEP_3)
	v_add3_u32 v75, 0, v75, v118
	v_fma_f64 v[68:69], v[4:5], 2.0, -v[40:41]
	v_fma_f64 v[70:71], v[6:7], 2.0, -v[42:43]
	;; [unrolled: 1-line block ×16, first 2 shown]
	v_and_b32_e32 v36, 0xffff, v104
	v_mul_u32_u24_e32 v37, 0x440, v72
	v_mul_u32_u24_e32 v38, 0x440, v105
	;; [unrolled: 1-line block ×5, first 2 shown]
	v_add3_u32 v37, 0, v37, v111
	v_add3_u32 v38, 0, v38, v113
	v_add3_u32 v39, 0, v39, v114
	v_add3_u32 v72, 0, v72, v115
	v_add3_u32 v36, 0, v36, v112
	ds_store_b128 v37, v[68:71]
	ds_store_b128 v37, v[40:43] offset:544
	ds_store_b128 v36, v[12:15]
	ds_store_b128 v36, v[44:47] offset:544
	;; [unrolled: 2-line block ×8, first 2 shown]
	s_waitcnt lgkmcnt(0)
	s_barrier
	buffer_gl0_inv
	ds_load_b128 v[32:35], v172
	ds_load_b128 v[28:31], v172 offset:1904
	ds_load_b128 v[68:71], v172 offset:4352
	;; [unrolled: 1-line block ×13, first 2 shown]
                                        ; implicit-def: $vgpr26_vgpr27
                                        ; implicit-def: $vgpr22_vgpr23
                                        ; implicit-def: $vgpr18_vgpr19
                                        ; implicit-def: $vgpr14_vgpr15
	s_and_saveexec_b32 s1, s0
	s_cbranch_execz .LBB0_21
; %bb.20:
	ds_load_b128 v[4:7], v172 offset:3808
	ds_load_b128 v[8:11], v172 offset:8160
	;; [unrolled: 1-line block ×7, first 2 shown]
.LBB0_21:
	s_or_b32 exec_lo, exec_lo, s1
	v_add_nc_u32_e32 v91, 0xffffffbc, v84
	v_mul_lo_u16 v92, 0x79, v90
	v_cmp_gt_u32_e64 s1, 0x44, v84
	s_mov_b32 s10, 0x37e14327
	s_mov_b32 s14, 0xe976ee23
	;; [unrolled: 1-line block ×4, first 2 shown]
	v_cndmask_b32_e64 v90, v91, v84, s1
	v_lshrrev_b16 v91, 13, v92
	s_mov_b32 s2, 0x429ad128
	s_mov_b32 s6, 0x36b3c0b5
	;; [unrolled: 1-line block ×3, first 2 shown]
	v_mul_i32_i24_e32 v92, 6, v90
	v_mul_lo_u16 v94, 0x44, v91
	s_mov_b32 s7, 0x3fac98ee
	s_mov_b32 s12, 0xaaaaaaaa
	;; [unrolled: 1-line block ×4, first 2 shown]
	v_sub_nc_u16 v89, v89, v94
	s_mov_b32 s16, 0x5476071b
	s_mov_b32 s21, 0xbfd5d0dc
	;; [unrolled: 1-line block ×4, first 2 shown]
	v_and_b32_e32 v89, 0xff, v89
	s_mov_b32 s23, 0x3fd5d0dc
	s_mov_b32 s18, s16
	;; [unrolled: 1-line block ×4, first 2 shown]
	v_mul_u32_u24_e32 v108, 6, v89
	v_mov_b32_e32 v93, 0
	s_mov_b32 s25, 0xbfdc38aa
	v_and_b32_e32 v91, 0xffff, v91
	v_lshlrev_b32_e32 v90, 4, v90
	v_lshlrev_b32_e32 v136, 4, v108
	v_lshlrev_b64 v[92:93], 4, v[92:93]
	v_lshlrev_b32_e32 v89, 4, v89
	v_mul_u32_u24_e32 v91, 0x1dc0, v91
	s_delay_alu instid0(VALU_DEP_3) | instskip(NEXT) | instid1(VALU_DEP_1)
	v_add_co_u32 v128, s1, s4, v92
	v_add_co_ci_u32_e64 v129, s1, s5, v93, s1
	s_clause 0xb
	global_load_b128 v[92:95], v[128:129], off offset:816
	global_load_b128 v[96:99], v[128:129], off offset:832
	;; [unrolled: 1-line block ×4, first 2 shown]
	global_load_b128 v[108:111], v136, s[4:5] offset:816
	global_load_b128 v[112:115], v136, s[4:5] offset:832
	;; [unrolled: 1-line block ×4, first 2 shown]
	global_load_b128 v[124:127], v[128:129], off offset:848
	global_load_b128 v[128:131], v[128:129], off offset:864
	global_load_b128 v[132:135], v136, s[4:5] offset:848
	global_load_b128 v[136:139], v136, s[4:5] offset:864
	v_cmp_lt_u32_e64 s1, 0x43, v84
	v_add3_u32 v89, 0, v91, v89
	s_waitcnt vmcnt(0) lgkmcnt(0)
	s_barrier
	buffer_gl0_inv
	v_mul_f64 v[148:149], v[54:55], v[110:111]
	v_mul_f64 v[110:111], v[52:53], v[110:111]
	;; [unrolled: 1-line block ×20, first 2 shown]
	v_fma_f64 v[52:53], v[52:53], v[108:109], v[148:149]
	v_fma_f64 v[54:55], v[54:55], v[108:109], -v[110:111]
	v_fma_f64 v[56:57], v[56:57], v[112:113], v[150:151]
	v_fma_f64 v[58:59], v[58:59], v[112:113], -v[114:115]
	;; [unrolled: 2-line block ×6, first 2 shown]
	v_mul_f64 v[92:93], v[38:39], v[134:135]
	v_mul_f64 v[94:95], v[36:37], v[134:135]
	;; [unrolled: 1-line block ×4, first 2 shown]
	v_fma_f64 v[64:65], v[64:65], v[116:117], v[152:153]
	v_fma_f64 v[66:67], v[66:67], v[116:117], -v[118:119]
	v_fma_f64 v[60:61], v[60:61], v[120:121], v[154:155]
	v_fma_f64 v[62:63], v[62:63], v[120:121], -v[122:123]
	;; [unrolled: 2-line block ×4, first 2 shown]
	v_add_f64 v[100:101], v[68:69], v[80:81]
	v_add_f64 v[102:103], v[70:71], v[82:83]
	;; [unrolled: 1-line block ×4, first 2 shown]
	v_fma_f64 v[36:37], v[36:37], v[132:133], v[92:93]
	v_fma_f64 v[38:39], v[38:39], v[132:133], -v[94:95]
	v_fma_f64 v[40:41], v[40:41], v[136:137], v[96:97]
	v_fma_f64 v[42:43], v[42:43], v[136:137], -v[98:99]
	v_add_f64 v[92:93], v[52:53], v[64:65]
	v_add_f64 v[94:95], v[54:55], v[66:67]
	;; [unrolled: 1-line block ×4, first 2 shown]
	v_add_f64 v[72:73], v[72:73], -v[76:77]
	v_add_f64 v[74:75], v[74:75], -v[78:79]
	v_add_f64 v[108:109], v[44:45], v[48:49]
	v_add_f64 v[110:111], v[46:47], v[50:51]
	v_add_f64 v[44:45], v[48:49], -v[44:45]
	v_add_f64 v[46:47], v[50:51], -v[46:47]
	;; [unrolled: 1-line block ×6, first 2 shown]
	v_add_f64 v[68:69], v[104:105], v[100:101]
	v_add_f64 v[70:71], v[106:107], v[102:103]
	;; [unrolled: 1-line block ×4, first 2 shown]
	v_add_f64 v[36:37], v[40:41], -v[36:37]
	v_add_f64 v[38:39], v[42:43], -v[38:39]
	;; [unrolled: 1-line block ×4, first 2 shown]
	v_add_f64 v[52:53], v[96:97], v[92:93]
	v_add_f64 v[54:55], v[98:99], v[94:95]
	v_add_f64 v[64:65], v[100:101], -v[108:109]
	v_add_f64 v[66:67], v[102:103], -v[110:111]
	;; [unrolled: 1-line block ×8, first 2 shown]
	v_add_f64 v[72:73], v[44:45], v[72:73]
	v_add_f64 v[74:75], v[46:47], v[74:75]
	v_add_f64 v[44:45], v[48:49], -v[44:45]
	v_add_f64 v[46:47], v[50:51], -v[46:47]
	;; [unrolled: 1-line block ×4, first 2 shown]
	v_add_f64 v[68:69], v[108:109], v[68:69]
	v_add_f64 v[70:71], v[110:111], v[70:71]
	v_add_f64 v[108:109], v[92:93], -v[60:61]
	v_add_f64 v[110:111], v[94:95], -v[62:63]
	;; [unrolled: 1-line block ×6, first 2 shown]
	v_add_f64 v[52:53], v[60:61], v[52:53]
	v_add_f64 v[54:55], v[62:63], v[54:55]
	v_add_f64 v[60:61], v[60:61], -v[96:97]
	v_add_f64 v[62:63], v[62:63], -v[98:99]
	v_add_f64 v[56:57], v[36:37], v[56:57]
	v_add_f64 v[58:59], v[38:39], v[58:59]
	v_mul_f64 v[64:65], v[64:65], s[10:11]
	v_mul_f64 v[66:67], v[66:67], s[10:11]
	;; [unrolled: 1-line block ×8, first 2 shown]
	v_add_f64 v[36:37], v[40:41], -v[36:37]
	v_add_f64 v[38:39], v[42:43], -v[38:39]
	;; [unrolled: 1-line block ×4, first 2 shown]
	v_add_f64 v[48:49], v[72:73], v[48:49]
	v_add_f64 v[50:51], v[74:75], v[50:51]
	;; [unrolled: 1-line block ×4, first 2 shown]
	v_mul_f64 v[108:109], v[108:109], s[10:11]
	v_mul_f64 v[110:111], v[110:111], s[10:11]
	;; [unrolled: 1-line block ×6, first 2 shown]
	v_add_f64 v[28:29], v[28:29], v[52:53]
	v_add_f64 v[30:31], v[30:31], v[54:55]
	v_mul_f64 v[96:97], v[60:61], s[6:7]
	v_mul_f64 v[98:99], v[62:63], s[6:7]
	v_add_f64 v[40:41], v[56:57], v[40:41]
	v_add_f64 v[42:43], v[58:59], v[42:43]
	v_fma_f64 v[56:57], v[76:77], s[6:7], v[64:65]
	v_fma_f64 v[58:59], v[78:79], s[6:7], v[66:67]
	;; [unrolled: 1-line block ×4, first 2 shown]
	v_fma_f64 v[44:45], v[44:45], s[22:23], -v[124:125]
	v_fma_f64 v[46:47], v[46:47], s[22:23], -v[126:127]
	;; [unrolled: 1-line block ×8, first 2 shown]
	v_fma_f64 v[68:69], v[68:69], s[12:13], v[32:33]
	v_fma_f64 v[70:71], v[70:71], s[12:13], v[34:35]
	;; [unrolled: 1-line block ×6, first 2 shown]
	v_fma_f64 v[104:105], v[120:121], s[2:3], -v[116:117]
	v_fma_f64 v[106:107], v[122:123], s[2:3], -v[118:119]
	v_fma_f64 v[52:53], v[52:53], s[12:13], v[28:29]
	v_fma_f64 v[54:55], v[54:55], s[12:13], v[30:31]
	v_fma_f64 v[36:37], v[36:37], s[22:23], -v[128:129]
	v_fma_f64 v[38:39], v[38:39], s[22:23], -v[130:131]
	;; [unrolled: 1-line block ×6, first 2 shown]
	v_fma_f64 v[76:77], v[48:49], s[24:25], v[76:77]
	v_fma_f64 v[78:79], v[50:51], s[24:25], v[78:79]
	;; [unrolled: 1-line block ×6, first 2 shown]
	v_add_f64 v[56:57], v[56:57], v[68:69]
	v_add_f64 v[58:59], v[58:59], v[70:71]
	;; [unrolled: 1-line block ×6, first 2 shown]
	v_fma_f64 v[100:101], v[40:41], s[24:25], v[100:101]
	v_fma_f64 v[102:103], v[42:43], s[24:25], v[102:103]
	;; [unrolled: 1-line block ×4, first 2 shown]
	v_add_f64 v[112:113], v[60:61], v[52:53]
	v_add_f64 v[114:115], v[62:63], v[54:55]
	v_fma_f64 v[104:105], v[40:41], s[24:25], v[36:37]
	v_fma_f64 v[106:107], v[42:43], s[24:25], v[38:39]
	v_add_f64 v[108:109], v[108:109], v[52:53]
	v_add_f64 v[110:111], v[110:111], v[54:55]
	;; [unrolled: 1-line block ×5, first 2 shown]
	v_add_f64 v[38:39], v[58:59], -v[76:77]
	v_add_f64 v[40:41], v[98:99], v[64:65]
	v_add_f64 v[42:43], v[66:67], -v[96:97]
	v_add_f64 v[44:45], v[48:49], -v[82:83]
	v_add_f64 v[46:47], v[80:81], v[50:51]
	v_add_f64 v[48:49], v[82:83], v[48:49]
	v_add_f64 v[50:51], v[50:51], -v[80:81]
	v_add_f64 v[52:53], v[64:65], -v[98:99]
	v_add_f64 v[54:55], v[96:97], v[66:67]
	v_add_f64 v[56:57], v[56:57], -v[78:79]
	v_add_f64 v[58:59], v[76:77], v[58:59]
	v_add_f64 v[60:61], v[102:103], v[112:113]
	v_add_f64 v[62:63], v[114:115], -v[100:101]
	v_add_f64 v[64:65], v[106:107], v[108:109]
	v_add_f64 v[66:67], v[110:111], -v[104:105]
	v_add_f64 v[68:69], v[92:93], -v[72:73]
	v_add_f64 v[70:71], v[74:75], v[94:95]
	v_add_f64 v[72:73], v[72:73], v[92:93]
	v_add_f64 v[74:75], v[94:95], -v[74:75]
	v_add_f64 v[76:77], v[108:109], -v[106:107]
	v_add_f64 v[78:79], v[104:105], v[110:111]
	v_add_f64 v[80:81], v[112:113], -v[102:103]
	v_add_f64 v[82:83], v[100:101], v[114:115]
	v_cndmask_b32_e64 v92, 0, 0x1dc0, s1
	s_delay_alu instid0(VALU_DEP_1)
	v_add3_u32 v90, 0, v92, v90
	ds_store_b128 v90, v[32:35]
	ds_store_b128 v90, v[36:39] offset:1088
	ds_store_b128 v90, v[40:43] offset:2176
	;; [unrolled: 1-line block ×6, first 2 shown]
	ds_store_b128 v89, v[28:31]
	ds_store_b128 v89, v[60:63] offset:1088
	ds_store_b128 v89, v[64:67] offset:2176
	;; [unrolled: 1-line block ×6, first 2 shown]
	s_and_saveexec_b32 s1, s0
	s_cbranch_execz .LBB0_23
; %bb.22:
	v_lshrrev_b32_e32 v28, 22, v88
	s_delay_alu instid0(VALU_DEP_1) | instskip(NEXT) | instid1(VALU_DEP_1)
	v_mul_lo_u16 v28, 0x44, v28
	v_sub_nc_u16 v28, v85, v28
	s_delay_alu instid0(VALU_DEP_1) | instskip(NEXT) | instid1(VALU_DEP_1)
	v_and_b32_e32 v64, 0xffff, v28
	v_mul_u32_u24_e32 v28, 6, v64
	s_delay_alu instid0(VALU_DEP_1)
	v_lshlrev_b32_e32 v48, 4, v28
	s_clause 0x5
	global_load_b128 v[28:31], v48, s[4:5] offset:832
	global_load_b128 v[32:35], v48, s[4:5] offset:880
	global_load_b128 v[36:39], v48, s[4:5] offset:816
	global_load_b128 v[40:43], v48, s[4:5] offset:896
	global_load_b128 v[44:47], v48, s[4:5] offset:864
	global_load_b128 v[48:51], v48, s[4:5] offset:848
	s_waitcnt vmcnt(5)
	v_mul_f64 v[52:53], v[0:1], v[30:31]
	s_waitcnt vmcnt(4)
	v_mul_f64 v[54:55], v[20:21], v[34:35]
	;; [unrolled: 2-line block ×4, first 2 shown]
	v_mul_f64 v[30:31], v[2:3], v[30:31]
	v_mul_f64 v[34:35], v[22:23], v[34:35]
	;; [unrolled: 1-line block ×4, first 2 shown]
	s_waitcnt vmcnt(1)
	v_mul_f64 v[60:61], v[18:19], v[46:47]
	s_waitcnt vmcnt(0)
	v_mul_f64 v[62:63], v[14:15], v[50:51]
	v_mul_f64 v[50:51], v[12:13], v[50:51]
	;; [unrolled: 1-line block ×3, first 2 shown]
	v_fma_f64 v[2:3], v[2:3], v[28:29], -v[52:53]
	v_fma_f64 v[22:23], v[22:23], v[32:33], -v[54:55]
	;; [unrolled: 1-line block ×4, first 2 shown]
	v_fma_f64 v[0:1], v[0:1], v[28:29], v[30:31]
	v_fma_f64 v[20:21], v[20:21], v[32:33], v[34:35]
	;; [unrolled: 1-line block ×6, first 2 shown]
	v_fma_f64 v[14:15], v[14:15], v[48:49], -v[50:51]
	v_fma_f64 v[18:19], v[18:19], v[44:45], -v[46:47]
	v_add_f64 v[28:29], v[2:3], v[22:23]
	v_add_f64 v[2:3], v[2:3], -v[22:23]
	v_add_f64 v[30:31], v[10:11], v[26:27]
	v_add_f64 v[10:11], v[10:11], -v[26:27]
	;; [unrolled: 2-line block ×4, first 2 shown]
	v_add_f64 v[36:37], v[16:17], -v[12:13]
	v_add_f64 v[12:13], v[12:13], v[16:17]
	v_add_f64 v[20:21], v[14:15], v[18:19]
	v_add_f64 v[14:15], v[18:19], -v[14:15]
	v_add_f64 v[16:17], v[28:29], v[30:31]
	v_add_f64 v[42:43], v[2:3], -v[10:11]
	;; [unrolled: 2-line block ×3, first 2 shown]
	v_add_f64 v[22:23], v[36:37], -v[0:1]
	v_add_f64 v[26:27], v[34:35], -v[12:13]
	;; [unrolled: 1-line block ×4, first 2 shown]
	v_add_f64 v[44:45], v[36:37], v[0:1]
	v_add_f64 v[36:37], v[8:9], -v[36:37]
	v_add_f64 v[46:47], v[14:15], v[2:3]
	v_add_f64 v[14:15], v[10:11], -v[14:15]
	;; [unrolled: 2-line block ×4, first 2 shown]
	v_mul_f64 v[22:23], v[22:23], s[14:15]
	v_mul_f64 v[26:27], v[26:27], s[10:11]
	;; [unrolled: 1-line block ×4, first 2 shown]
	v_add_f64 v[8:9], v[44:45], v[8:9]
	v_add_f64 v[10:11], v[46:47], v[10:11]
	v_add_f64 v[2:3], v[6:7], v[16:17]
	v_add_f64 v[6:7], v[28:29], -v[30:31]
	v_mul_f64 v[28:29], v[20:21], s[6:7]
	v_mul_f64 v[30:31], v[40:41], s[14:15]
	v_add_f64 v[0:1], v[4:5], v[18:19]
	v_mul_f64 v[40:41], v[42:43], s[2:3]
	v_add_f64 v[4:5], v[32:33], -v[34:35]
	v_mul_f64 v[32:33], v[12:13], s[6:7]
	v_fma_f64 v[34:35], v[36:37], s[20:21], v[22:23]
	v_fma_f64 v[20:21], v[20:21], s[6:7], v[24:25]
	;; [unrolled: 1-line block ×3, first 2 shown]
	v_fma_f64 v[36:37], v[36:37], s[22:23], -v[48:49]
	v_fma_f64 v[22:23], v[38:39], s[2:3], -v[22:23]
	v_fma_f64 v[16:17], v[16:17], s[12:13], v[2:3]
	v_fma_f64 v[24:25], v[6:7], s[18:19], -v[24:25]
	v_fma_f64 v[6:7], v[6:7], s[16:17], -v[28:29]
	v_fma_f64 v[28:29], v[14:15], s[20:21], v[30:31]
	v_fma_f64 v[18:19], v[18:19], s[12:13], v[0:1]
	v_fma_f64 v[14:15], v[14:15], s[22:23], -v[40:41]
	v_fma_f64 v[26:27], v[4:5], s[18:19], -v[26:27]
	;; [unrolled: 1-line block ×4, first 2 shown]
	v_fma_f64 v[32:33], v[8:9], s[24:25], v[34:35]
	v_fma_f64 v[34:35], v[8:9], s[24:25], v[36:37]
	;; [unrolled: 1-line block ×3, first 2 shown]
	v_add_f64 v[20:21], v[20:21], v[16:17]
	v_add_f64 v[22:23], v[24:25], v[16:17]
	;; [unrolled: 1-line block ×3, first 2 shown]
	v_fma_f64 v[28:29], v[10:11], s[24:25], v[28:29]
	v_add_f64 v[38:39], v[12:13], v[18:19]
	v_fma_f64 v[36:37], v[10:11], s[24:25], v[14:15]
	v_add_f64 v[40:41], v[26:27], v[18:19]
	;; [unrolled: 2-line block ×3, first 2 shown]
	v_add_f64 v[26:27], v[20:21], -v[32:33]
	v_add_f64 v[6:7], v[32:33], v[20:21]
	v_add_f64 v[10:11], v[34:35], v[22:23]
	v_add_f64 v[22:23], v[22:23], -v[34:35]
	v_add_f64 v[24:25], v[28:29], v[38:39]
	v_add_f64 v[14:15], v[16:17], -v[8:9]
	v_add_f64 v[20:21], v[36:37], v[40:41]
	v_add_f64 v[18:19], v[8:9], v[16:17]
	v_add_f64 v[16:17], v[4:5], -v[30:31]
	v_add_f64 v[12:13], v[30:31], v[4:5]
	v_add_f64 v[8:9], v[40:41], -v[36:37]
	v_add_f64 v[4:5], v[38:39], -v[28:29]
	v_lshl_add_u32 v28, v64, 4, 0
	ds_store_b128 v28, v[0:3] offset:22848
	ds_store_b128 v28, v[24:27] offset:23936
	;; [unrolled: 1-line block ×7, first 2 shown]
.LBB0_23:
	s_or_b32 exec_lo, exec_lo, s1
	v_mul_u32_u24_e32 v0, 3, v84
	s_waitcnt lgkmcnt(0)
	s_barrier
	buffer_gl0_inv
	v_lshlrev_b32_e32 v0, 4, v0
	s_delay_alu instid0(VALU_DEP_1) | instskip(NEXT) | instid1(VALU_DEP_1)
	v_add_co_u32 v34, s0, s4, v0
	v_add_co_ci_u32_e64 v35, null, s5, 0, s0
	s_delay_alu instid0(VALU_DEP_2) | instskip(NEXT) | instid1(VALU_DEP_1)
	v_add_co_u32 v0, s0, 0x1000, v34
	v_add_co_ci_u32_e64 v1, s0, 0, v35, s0
	v_add_co_u32 v8, s0, 0x1cb0, v34
	s_delay_alu instid0(VALU_DEP_1) | instskip(SKIP_1) | instid1(VALU_DEP_1)
	v_add_co_ci_u32_e64 v9, s0, 0, v35, s0
	v_add_co_u32 v20, s0, 0x3300, v34
	v_add_co_ci_u32_e64 v21, s0, 0, v35, s0
	v_add_co_u32 v12, s0, 0x3000, v34
	s_delay_alu instid0(VALU_DEP_1) | instskip(SKIP_1) | instid1(VALU_DEP_1)
	v_add_co_ci_u32_e64 v13, s0, 0, v35, s0
	;; [unrolled: 5-line block ×3, first 2 shown]
	v_add_co_u32 v36, s0, 0x5000, v34
	v_add_co_ci_u32_e64 v37, s0, 0, v35, s0
	v_add_co_u32 v44, s0, 0x5fa0, v34
	s_clause 0x2
	global_load_b128 v[0:3], v[0:1], off offset:3248
	global_load_b128 v[4:7], v[8:9], off offset:32
	;; [unrolled: 1-line block ×3, first 2 shown]
	v_add_co_ci_u32_e64 v45, s0, 0, v35, s0
	s_clause 0x8
	global_load_b128 v[12:15], v[12:13], off offset:768
	global_load_b128 v[16:19], v[20:21], off offset:32
	;; [unrolled: 1-line block ×9, first 2 shown]
	ds_load_b128 v[48:51], v172 offset:7616
	ds_load_b128 v[52:55], v172 offset:15232
	;; [unrolled: 1-line block ×12, first 2 shown]
	s_waitcnt vmcnt(11) lgkmcnt(11)
	v_mul_f64 v[100:101], v[50:51], v[2:3]
	v_mul_f64 v[2:3], v[48:49], v[2:3]
	s_waitcnt vmcnt(9) lgkmcnt(10)
	v_mul_f64 v[102:103], v[54:55], v[10:11]
	v_mul_f64 v[10:11], v[52:53], v[10:11]
	s_waitcnt lgkmcnt(9)
	v_mul_f64 v[104:105], v[58:59], v[6:7]
	v_mul_f64 v[6:7], v[56:57], v[6:7]
	s_waitcnt vmcnt(8) lgkmcnt(8)
	v_mul_f64 v[106:107], v[62:63], v[14:15]
	v_mul_f64 v[14:15], v[60:61], v[14:15]
	s_waitcnt vmcnt(6) lgkmcnt(7)
	v_mul_f64 v[108:109], v[66:67], v[22:23]
	v_mul_f64 v[22:23], v[64:65], v[22:23]
	s_waitcnt lgkmcnt(6)
	v_mul_f64 v[110:111], v[70:71], v[18:19]
	v_mul_f64 v[18:19], v[68:69], v[18:19]
	s_waitcnt vmcnt(5) lgkmcnt(5)
	v_mul_f64 v[112:113], v[74:75], v[26:27]
	v_mul_f64 v[26:27], v[72:73], v[26:27]
	s_waitcnt vmcnt(4) lgkmcnt(4)
	;; [unrolled: 3-line block ×6, first 2 shown]
	v_mul_f64 v[122:123], v[98:99], v[46:47]
	v_mul_f64 v[46:47], v[96:97], v[46:47]
	v_fma_f64 v[48:49], v[48:49], v[0:1], v[100:101]
	v_fma_f64 v[50:51], v[50:51], v[0:1], -v[2:3]
	v_fma_f64 v[52:53], v[52:53], v[8:9], v[102:103]
	v_fma_f64 v[54:55], v[54:55], v[8:9], -v[10:11]
	;; [unrolled: 2-line block ×12, first 2 shown]
	ds_load_b128 v[0:3], v172
	ds_load_b128 v[4:7], v172 offset:1904
	ds_load_b128 v[8:11], v172 offset:3808
	;; [unrolled: 1-line block ×3, first 2 shown]
	s_waitcnt lgkmcnt(0)
	s_barrier
	buffer_gl0_inv
	v_add_f64 v[46:47], v[0:1], -v[52:53]
	v_add_f64 v[52:53], v[2:3], -v[54:55]
	;; [unrolled: 1-line block ×16, first 2 shown]
	v_fma_f64 v[74:75], v[0:1], 2.0, -v[46:47]
	v_fma_f64 v[76:77], v[2:3], 2.0, -v[52:53]
	;; [unrolled: 1-line block ×4, first 2 shown]
	v_add_f64 v[0:1], v[46:47], v[56:57]
	v_fma_f64 v[78:79], v[4:5], 2.0, -v[58:59]
	v_fma_f64 v[80:81], v[6:7], 2.0, -v[64:65]
	v_fma_f64 v[40:41], v[60:61], 2.0, -v[20:21]
	v_fma_f64 v[42:43], v[62:63], 2.0, -v[16:17]
	v_add_f64 v[2:3], v[52:53], -v[54:55]
	v_add_f64 v[4:5], v[58:59], v[16:17]
	v_fma_f64 v[60:61], v[8:9], 2.0, -v[66:67]
	v_fma_f64 v[62:63], v[10:11], 2.0, -v[68:69]
	v_fma_f64 v[44:45], v[18:19], 2.0, -v[22:23]
	v_fma_f64 v[48:49], v[24:25], 2.0, -v[26:27]
	v_add_f64 v[6:7], v[64:65], -v[20:21]
	;; [unrolled: 6-line block ×3, first 2 shown]
	v_add_f64 v[12:13], v[70:71], v[30:31]
	v_add_f64 v[14:15], v[72:73], -v[28:29]
	v_add_f64 v[16:17], v[74:75], -v[32:33]
	;; [unrolled: 1-line block ×3, first 2 shown]
	v_fma_f64 v[32:33], v[46:47], 2.0, -v[0:1]
	v_add_f64 v[20:21], v[78:79], -v[40:41]
	v_add_f64 v[22:23], v[80:81], -v[42:43]
	v_add_f64 v[24:25], v[60:61], -v[44:45]
	v_add_f64 v[26:27], v[62:63], -v[48:49]
	v_fma_f64 v[38:39], v[64:65], 2.0, -v[6:7]
	v_fma_f64 v[40:41], v[66:67], 2.0, -v[8:9]
	v_add_f64 v[28:29], v[82:83], -v[34:35]
	v_add_f64 v[30:31], v[88:89], -v[36:37]
	v_fma_f64 v[34:35], v[52:53], 2.0, -v[2:3]
	v_fma_f64 v[36:37], v[58:59], 2.0, -v[4:5]
	;; [unrolled: 1-line block ×13, first 2 shown]
	ds_store_b128 v172, v[0:3] offset:22848
	ds_store_b128 v172, v[4:7] offset:24752
	;; [unrolled: 1-line block ×12, first 2 shown]
	ds_store_b128 v172, v[48:51]
	ds_store_b128 v172, v[52:55] offset:1904
	ds_store_b128 v172, v[56:59] offset:3808
	;; [unrolled: 1-line block ×3, first 2 shown]
	s_waitcnt lgkmcnt(0)
	s_barrier
	buffer_gl0_inv
	s_and_saveexec_b32 s0, vcc_lo
	s_cbranch_execz .LBB0_25
; %bb.24:
	v_lshl_add_u32 v34, v84, 4, 0
	v_dual_mov_b32 v85, 0 :: v_dual_add_nc_u32 v8, 0x77, v84
	v_add_co_u32 v36, vcc_lo, s8, v86
	ds_load_b128 v[0:3], v34
	ds_load_b128 v[4:7], v34 offset:1904
	v_dual_mov_b32 v9, v85 :: v_dual_add_nc_u32 v12, 0xee, v84
	v_lshlrev_b64 v[10:11], 4, v[84:85]
	v_add_co_ci_u32_e32 v37, vcc_lo, s9, v87, vcc_lo
	s_delay_alu instid0(VALU_DEP_3) | instskip(SKIP_1) | instid1(VALU_DEP_4)
	v_lshlrev_b64 v[8:9], 4, v[8:9]
	v_dual_mov_b32 v13, v85 :: v_dual_add_nc_u32 v14, 0x165, v84
	v_add_co_u32 v10, vcc_lo, v36, v10
	s_delay_alu instid0(VALU_DEP_4) | instskip(NEXT) | instid1(VALU_DEP_4)
	v_add_co_ci_u32_e32 v11, vcc_lo, v37, v11, vcc_lo
	v_add_co_u32 v8, vcc_lo, v36, v8
	v_add_co_ci_u32_e32 v9, vcc_lo, v37, v9, vcc_lo
	v_lshlrev_b64 v[12:13], 4, v[12:13]
	v_mov_b32_e32 v15, v85
	v_dual_mov_b32 v23, v85 :: v_dual_add_nc_u32 v24, 0x2ca, v84
	s_waitcnt lgkmcnt(1)
	global_store_b128 v[10:11], v[0:3], off
	s_waitcnt lgkmcnt(0)
	global_store_b128 v[8:9], v[4:7], off
	v_dual_mov_b32 v9, v85 :: v_dual_add_nc_u32 v8, 0x1dc, v84
	v_add_nc_u32_e32 v22, 0x253, v84
	v_add_co_u32 v16, vcc_lo, v36, v12
	v_add_co_ci_u32_e32 v17, vcc_lo, v37, v13, vcc_lo
	ds_load_b128 v[0:3], v34 offset:3808
	ds_load_b128 v[4:7], v34 offset:5712
	v_lshlrev_b64 v[18:19], 4, v[14:15]
	v_lshlrev_b64 v[20:21], 4, v[8:9]
	ds_load_b128 v[8:11], v34 offset:7616
	ds_load_b128 v[12:15], v34 offset:9520
	v_lshlrev_b64 v[22:23], 4, v[22:23]
	v_mov_b32_e32 v25, v85
	v_add_co_u32 v18, vcc_lo, v36, v18
	v_add_co_ci_u32_e32 v19, vcc_lo, v37, v19, vcc_lo
	v_add_co_u32 v20, vcc_lo, v36, v20
	v_add_co_ci_u32_e32 v21, vcc_lo, v37, v21, vcc_lo
	;; [unrolled: 2-line block ×3, first 2 shown]
	s_waitcnt lgkmcnt(3)
	global_store_b128 v[16:17], v[0:3], off
	s_waitcnt lgkmcnt(2)
	global_store_b128 v[18:19], v[4:7], off
	;; [unrolled: 2-line block ×4, first 2 shown]
	v_add_nc_u32_e32 v8, 0x341, v84
	v_lshlrev_b64 v[0:1], 4, v[24:25]
	v_dual_mov_b32 v9, v85 :: v_dual_add_nc_u32 v10, 0x3b8, v84
	v_dual_mov_b32 v11, v85 :: v_dual_add_nc_u32 v22, 0x42f, v84
	;; [unrolled: 1-line block ×3, first 2 shown]
	s_delay_alu instid0(VALU_DEP_4)
	v_add_co_u32 v16, vcc_lo, v36, v0
	v_add_co_ci_u32_e32 v17, vcc_lo, v37, v1, vcc_lo
	ds_load_b128 v[0:3], v34 offset:11424
	ds_load_b128 v[4:7], v34 offset:13328
	v_lshlrev_b64 v[18:19], 4, v[8:9]
	v_lshlrev_b64 v[20:21], 4, v[10:11]
	ds_load_b128 v[8:11], v34 offset:15232
	ds_load_b128 v[12:15], v34 offset:17136
	v_lshlrev_b64 v[22:23], 4, v[22:23]
	v_add_co_u32 v18, vcc_lo, v36, v18
	v_add_co_ci_u32_e32 v19, vcc_lo, v37, v19, vcc_lo
	v_add_co_u32 v20, vcc_lo, v36, v20
	v_add_co_ci_u32_e32 v21, vcc_lo, v37, v21, vcc_lo
	v_add_co_u32 v22, vcc_lo, v36, v22
	s_waitcnt lgkmcnt(3)
	global_store_b128 v[16:17], v[0:3], off
	s_waitcnt lgkmcnt(2)
	global_store_b128 v[18:19], v[4:7], off
	v_dual_mov_b32 v3, v85 :: v_dual_add_nc_u32 v2, 0x51d, v84
	v_add_co_ci_u32_e32 v23, vcc_lo, v37, v23, vcc_lo
	v_lshlrev_b64 v[0:1], 4, v[24:25]
	s_waitcnt lgkmcnt(1)
	global_store_b128 v[20:21], v[8:11], off
	s_waitcnt lgkmcnt(0)
	global_store_b128 v[22:23], v[12:15], off
	v_lshlrev_b64 v[8:9], 4, v[2:3]
	v_dual_mov_b32 v11, v85 :: v_dual_add_nc_u32 v10, 0x594, v84
	v_add_co_u32 v24, vcc_lo, v36, v0
	v_add_co_ci_u32_e32 v25, vcc_lo, v37, v1, vcc_lo
	s_delay_alu instid0(VALU_DEP_4)
	v_add_co_u32 v26, vcc_lo, v36, v8
	v_add_co_ci_u32_e32 v27, vcc_lo, v37, v9, vcc_lo
	v_lshlrev_b64 v[8:9], 4, v[10:11]
	v_dual_mov_b32 v17, v85 :: v_dual_add_nc_u32 v16, 0x60b, v84
	v_dual_mov_b32 v19, v85 :: v_dual_add_nc_u32 v18, 0x682, v84
	ds_load_b128 v[0:3], v34 offset:19040
	ds_load_b128 v[4:7], v34 offset:20944
	v_add_co_u32 v28, vcc_lo, v36, v8
	v_add_co_ci_u32_e32 v29, vcc_lo, v37, v9, vcc_lo
	ds_load_b128 v[8:11], v34 offset:22848
	ds_load_b128 v[12:15], v34 offset:24752
	v_lshlrev_b64 v[30:31], 4, v[16:17]
	v_lshlrev_b64 v[32:33], 4, v[18:19]
	ds_load_b128 v[16:19], v34 offset:26656
	ds_load_b128 v[20:23], v34 offset:28560
	v_add_nc_u32_e32 v84, 0x6f9, v84
	v_add_co_u32 v30, vcc_lo, v36, v30
	s_delay_alu instid0(VALU_DEP_2) | instskip(SKIP_3) | instid1(VALU_DEP_4)
	v_lshlrev_b64 v[34:35], 4, v[84:85]
	v_add_co_ci_u32_e32 v31, vcc_lo, v37, v31, vcc_lo
	v_add_co_u32 v32, vcc_lo, v36, v32
	v_add_co_ci_u32_e32 v33, vcc_lo, v37, v33, vcc_lo
	v_add_co_u32 v34, vcc_lo, v36, v34
	v_add_co_ci_u32_e32 v35, vcc_lo, v37, v35, vcc_lo
	s_waitcnt lgkmcnt(5)
	global_store_b128 v[24:25], v[0:3], off
	s_waitcnt lgkmcnt(4)
	global_store_b128 v[26:27], v[4:7], off
	;; [unrolled: 2-line block ×6, first 2 shown]
.LBB0_25:
	s_nop 0
	s_sendmsg sendmsg(MSG_DEALLOC_VGPRS)
	s_endpgm
	.section	.rodata,"a",@progbits
	.p2align	6, 0x0
	.amdhsa_kernel fft_rtc_back_len1904_factors_17_2_2_7_4_wgs_119_tpt_119_halfLds_dp_ip_CI_unitstride_sbrr_C2R_dirReg
		.amdhsa_group_segment_fixed_size 0
		.amdhsa_private_segment_fixed_size 0
		.amdhsa_kernarg_size 88
		.amdhsa_user_sgpr_count 15
		.amdhsa_user_sgpr_dispatch_ptr 0
		.amdhsa_user_sgpr_queue_ptr 0
		.amdhsa_user_sgpr_kernarg_segment_ptr 1
		.amdhsa_user_sgpr_dispatch_id 0
		.amdhsa_user_sgpr_private_segment_size 0
		.amdhsa_wavefront_size32 1
		.amdhsa_uses_dynamic_stack 0
		.amdhsa_enable_private_segment 0
		.amdhsa_system_sgpr_workgroup_id_x 1
		.amdhsa_system_sgpr_workgroup_id_y 0
		.amdhsa_system_sgpr_workgroup_id_z 0
		.amdhsa_system_sgpr_workgroup_info 0
		.amdhsa_system_vgpr_workitem_id 0
		.amdhsa_next_free_vgpr 249
		.amdhsa_next_free_sgpr 52
		.amdhsa_reserve_vcc 1
		.amdhsa_float_round_mode_32 0
		.amdhsa_float_round_mode_16_64 0
		.amdhsa_float_denorm_mode_32 3
		.amdhsa_float_denorm_mode_16_64 3
		.amdhsa_dx10_clamp 1
		.amdhsa_ieee_mode 1
		.amdhsa_fp16_overflow 0
		.amdhsa_workgroup_processor_mode 1
		.amdhsa_memory_ordered 1
		.amdhsa_forward_progress 0
		.amdhsa_shared_vgpr_count 0
		.amdhsa_exception_fp_ieee_invalid_op 0
		.amdhsa_exception_fp_denorm_src 0
		.amdhsa_exception_fp_ieee_div_zero 0
		.amdhsa_exception_fp_ieee_overflow 0
		.amdhsa_exception_fp_ieee_underflow 0
		.amdhsa_exception_fp_ieee_inexact 0
		.amdhsa_exception_int_div_zero 0
	.end_amdhsa_kernel
	.text
.Lfunc_end0:
	.size	fft_rtc_back_len1904_factors_17_2_2_7_4_wgs_119_tpt_119_halfLds_dp_ip_CI_unitstride_sbrr_C2R_dirReg, .Lfunc_end0-fft_rtc_back_len1904_factors_17_2_2_7_4_wgs_119_tpt_119_halfLds_dp_ip_CI_unitstride_sbrr_C2R_dirReg
                                        ; -- End function
	.section	.AMDGPU.csdata,"",@progbits
; Kernel info:
; codeLenInByte = 19112
; NumSgprs: 54
; NumVgprs: 249
; ScratchSize: 0
; MemoryBound: 0
; FloatMode: 240
; IeeeMode: 1
; LDSByteSize: 0 bytes/workgroup (compile time only)
; SGPRBlocks: 6
; VGPRBlocks: 31
; NumSGPRsForWavesPerEU: 54
; NumVGPRsForWavesPerEU: 249
; Occupancy: 5
; WaveLimiterHint : 1
; COMPUTE_PGM_RSRC2:SCRATCH_EN: 0
; COMPUTE_PGM_RSRC2:USER_SGPR: 15
; COMPUTE_PGM_RSRC2:TRAP_HANDLER: 0
; COMPUTE_PGM_RSRC2:TGID_X_EN: 1
; COMPUTE_PGM_RSRC2:TGID_Y_EN: 0
; COMPUTE_PGM_RSRC2:TGID_Z_EN: 0
; COMPUTE_PGM_RSRC2:TIDIG_COMP_CNT: 0
	.text
	.p2alignl 7, 3214868480
	.fill 96, 4, 3214868480
	.type	__hip_cuid_60236f98c4430ca2,@object ; @__hip_cuid_60236f98c4430ca2
	.section	.bss,"aw",@nobits
	.globl	__hip_cuid_60236f98c4430ca2
__hip_cuid_60236f98c4430ca2:
	.byte	0                               ; 0x0
	.size	__hip_cuid_60236f98c4430ca2, 1

	.ident	"AMD clang version 19.0.0git (https://github.com/RadeonOpenCompute/llvm-project roc-6.4.0 25133 c7fe45cf4b819c5991fe208aaa96edf142730f1d)"
	.section	".note.GNU-stack","",@progbits
	.addrsig
	.addrsig_sym __hip_cuid_60236f98c4430ca2
	.amdgpu_metadata
---
amdhsa.kernels:
  - .args:
      - .actual_access:  read_only
        .address_space:  global
        .offset:         0
        .size:           8
        .value_kind:     global_buffer
      - .offset:         8
        .size:           8
        .value_kind:     by_value
      - .actual_access:  read_only
        .address_space:  global
        .offset:         16
        .size:           8
        .value_kind:     global_buffer
      - .actual_access:  read_only
        .address_space:  global
        .offset:         24
        .size:           8
        .value_kind:     global_buffer
      - .offset:         32
        .size:           8
        .value_kind:     by_value
      - .actual_access:  read_only
        .address_space:  global
        .offset:         40
        .size:           8
        .value_kind:     global_buffer
      - .actual_access:  read_only
        .address_space:  global
        .offset:         48
        .size:           8
        .value_kind:     global_buffer
      - .offset:         56
        .size:           4
        .value_kind:     by_value
      - .actual_access:  read_only
        .address_space:  global
        .offset:         64
        .size:           8
        .value_kind:     global_buffer
      - .actual_access:  read_only
        .address_space:  global
        .offset:         72
        .size:           8
        .value_kind:     global_buffer
      - .address_space:  global
        .offset:         80
        .size:           8
        .value_kind:     global_buffer
    .group_segment_fixed_size: 0
    .kernarg_segment_align: 8
    .kernarg_segment_size: 88
    .language:       OpenCL C
    .language_version:
      - 2
      - 0
    .max_flat_workgroup_size: 119
    .name:           fft_rtc_back_len1904_factors_17_2_2_7_4_wgs_119_tpt_119_halfLds_dp_ip_CI_unitstride_sbrr_C2R_dirReg
    .private_segment_fixed_size: 0
    .sgpr_count:     54
    .sgpr_spill_count: 0
    .symbol:         fft_rtc_back_len1904_factors_17_2_2_7_4_wgs_119_tpt_119_halfLds_dp_ip_CI_unitstride_sbrr_C2R_dirReg.kd
    .uniform_work_group_size: 1
    .uses_dynamic_stack: false
    .vgpr_count:     249
    .vgpr_spill_count: 0
    .wavefront_size: 32
    .workgroup_processor_mode: 1
amdhsa.target:   amdgcn-amd-amdhsa--gfx1100
amdhsa.version:
  - 1
  - 2
...

	.end_amdgpu_metadata
